;; amdgpu-corpus repo=LLNL/RAJAPerf kind=compiled arch=gfx906 opt=O3
	.amdgcn_target "amdgcn-amd-amdhsa--gfx906"
	.amdhsa_code_object_version 6
	.section	.text._ZN7rocprim6detail31init_lookback_scan_state_kernelINS0_19lookback_scan_stateIdLb1ELb1EEEEEvT_jjPNS4_10value_typeE,"axG",@progbits,_ZN7rocprim6detail31init_lookback_scan_state_kernelINS0_19lookback_scan_stateIdLb1ELb1EEEEEvT_jjPNS4_10value_typeE,comdat
	.protected	_ZN7rocprim6detail31init_lookback_scan_state_kernelINS0_19lookback_scan_stateIdLb1ELb1EEEEEvT_jjPNS4_10value_typeE ; -- Begin function _ZN7rocprim6detail31init_lookback_scan_state_kernelINS0_19lookback_scan_stateIdLb1ELb1EEEEEvT_jjPNS4_10value_typeE
	.globl	_ZN7rocprim6detail31init_lookback_scan_state_kernelINS0_19lookback_scan_stateIdLb1ELb1EEEEEvT_jjPNS4_10value_typeE
	.p2align	8
	.type	_ZN7rocprim6detail31init_lookback_scan_state_kernelINS0_19lookback_scan_stateIdLb1ELb1EEEEEvT_jjPNS4_10value_typeE,@function
_ZN7rocprim6detail31init_lookback_scan_state_kernelINS0_19lookback_scan_stateIdLb1ELb1EEEEEvT_jjPNS4_10value_typeE: ; @_ZN7rocprim6detail31init_lookback_scan_state_kernelINS0_19lookback_scan_stateIdLb1ELb1EEEEEvT_jjPNS4_10value_typeE
; %bb.0:
	s_load_dword s7, s[4:5], 0x24
	s_load_dwordx2 s[8:9], s[4:5], 0x10
	s_load_dwordx4 s[0:3], s[4:5], 0x0
	s_waitcnt lgkmcnt(0)
	s_and_b32 s4, s7, 0xffff
	s_mul_i32 s6, s6, s4
	s_cmp_eq_u64 s[8:9], 0
	v_add_u32_e32 v0, s6, v0
	s_cbranch_scc1 .LBB0_10
; %bb.1:
	s_cmp_lt_u32 s3, s2
	s_cselect_b32 s4, s3, 0
	s_mov_b32 s7, 0
	v_cmp_eq_u32_e32 vcc, s4, v0
	s_and_saveexec_b64 s[4:5], vcc
	s_cbranch_execz .LBB0_9
; %bb.2:
	s_add_i32 s6, s3, 64
	s_lshl_b64 s[6:7], s[6:7], 4
	s_add_u32 s12, s0, s6
	s_addc_u32 s13, s1, s7
	v_mov_b32_e32 v1, s12
	v_mov_b32_e32 v2, s13
	;;#ASMSTART
	global_load_dwordx4 v[1:4], v[1:2] off glc	
s_waitcnt vmcnt(0)
	;;#ASMEND
	v_and_b32_e32 v4, 0xff, v3
	v_mov_b32_e32 v5, 0
	v_cmp_eq_u64_e32 vcc, 0, v[4:5]
	s_mov_b64 s[10:11], 0
	s_and_saveexec_b64 s[6:7], vcc
	s_cbranch_execz .LBB0_8
; %bb.3:
	v_mov_b32_e32 v6, s12
	s_mov_b32 s3, 1
	v_mov_b32_e32 v7, s13
.LBB0_4:                                ; =>This Loop Header: Depth=1
                                        ;     Child Loop BB0_5 Depth 2
	s_mov_b32 s12, s3
.LBB0_5:                                ;   Parent Loop BB0_4 Depth=1
                                        ; =>  This Inner Loop Header: Depth=2
	s_add_i32 s12, s12, -1
	s_cmp_eq_u32 s12, 0
	s_sleep 1
	s_cbranch_scc0 .LBB0_5
; %bb.6:                                ;   in Loop: Header=BB0_4 Depth=1
	s_cmp_lt_u32 s3, 32
	;;#ASMSTART
	global_load_dwordx4 v[1:4], v[6:7] off glc	
s_waitcnt vmcnt(0)
	;;#ASMEND
	s_cselect_b64 s[12:13], -1, 0
	v_and_b32_e32 v4, 0xff, v3
	s_cmp_lg_u64 s[12:13], 0
	v_cmp_ne_u64_e32 vcc, 0, v[4:5]
	s_addc_u32 s3, s3, 0
	s_or_b64 s[10:11], vcc, s[10:11]
	s_andn2_b64 exec, exec, s[10:11]
	s_cbranch_execnz .LBB0_4
; %bb.7:
	s_or_b64 exec, exec, s[10:11]
.LBB0_8:
	s_or_b64 exec, exec, s[6:7]
	v_mov_b32_e32 v3, 0
	global_store_dwordx2 v3, v[1:2], s[8:9]
.LBB0_9:
	s_or_b64 exec, exec, s[4:5]
.LBB0_10:
	v_cmp_gt_u32_e32 vcc, s2, v0
	s_and_saveexec_b64 s[2:3], vcc
	s_cbranch_execnz .LBB0_13
; %bb.11:
	s_or_b64 exec, exec, s[2:3]
	v_cmp_gt_u32_e32 vcc, 64, v0
	s_and_saveexec_b64 s[2:3], vcc
	s_cbranch_execnz .LBB0_14
.LBB0_12:
	s_endpgm
.LBB0_13:
	v_add_u32_e32 v1, 64, v0
	v_mov_b32_e32 v2, 0
	v_lshlrev_b64 v[3:4], 4, v[1:2]
	v_mov_b32_e32 v1, s1
	v_add_co_u32_e32 v5, vcc, s0, v3
	v_addc_co_u32_e32 v6, vcc, v1, v4, vcc
	v_mov_b32_e32 v1, v2
	v_mov_b32_e32 v3, v2
	;; [unrolled: 1-line block ×3, first 2 shown]
	global_store_dwordx4 v[5:6], v[1:4], off
	s_or_b64 exec, exec, s[2:3]
	v_cmp_gt_u32_e32 vcc, 64, v0
	s_and_saveexec_b64 s[2:3], vcc
	s_cbranch_execz .LBB0_12
.LBB0_14:
	v_mov_b32_e32 v1, 0
	v_lshlrev_b64 v[2:3], 4, v[0:1]
	v_mov_b32_e32 v0, s1
	v_add_co_u32_e32 v4, vcc, s0, v2
	v_addc_co_u32_e32 v5, vcc, v0, v3, vcc
	v_mov_b32_e32 v2, 0xff
	v_mov_b32_e32 v0, v1
	;; [unrolled: 1-line block ×3, first 2 shown]
	global_store_dwordx4 v[4:5], v[0:3], off
	s_endpgm
	.section	.rodata,"a",@progbits
	.p2align	6, 0x0
	.amdhsa_kernel _ZN7rocprim6detail31init_lookback_scan_state_kernelINS0_19lookback_scan_stateIdLb1ELb1EEEEEvT_jjPNS4_10value_typeE
		.amdhsa_group_segment_fixed_size 0
		.amdhsa_private_segment_fixed_size 0
		.amdhsa_kernarg_size 280
		.amdhsa_user_sgpr_count 6
		.amdhsa_user_sgpr_private_segment_buffer 1
		.amdhsa_user_sgpr_dispatch_ptr 0
		.amdhsa_user_sgpr_queue_ptr 0
		.amdhsa_user_sgpr_kernarg_segment_ptr 1
		.amdhsa_user_sgpr_dispatch_id 0
		.amdhsa_user_sgpr_flat_scratch_init 0
		.amdhsa_user_sgpr_private_segment_size 0
		.amdhsa_uses_dynamic_stack 0
		.amdhsa_system_sgpr_private_segment_wavefront_offset 0
		.amdhsa_system_sgpr_workgroup_id_x 1
		.amdhsa_system_sgpr_workgroup_id_y 0
		.amdhsa_system_sgpr_workgroup_id_z 0
		.amdhsa_system_sgpr_workgroup_info 0
		.amdhsa_system_vgpr_workitem_id 0
		.amdhsa_next_free_vgpr 8
		.amdhsa_next_free_sgpr 14
		.amdhsa_reserve_vcc 1
		.amdhsa_reserve_flat_scratch 0
		.amdhsa_float_round_mode_32 0
		.amdhsa_float_round_mode_16_64 0
		.amdhsa_float_denorm_mode_32 3
		.amdhsa_float_denorm_mode_16_64 3
		.amdhsa_dx10_clamp 1
		.amdhsa_ieee_mode 1
		.amdhsa_fp16_overflow 0
		.amdhsa_exception_fp_ieee_invalid_op 0
		.amdhsa_exception_fp_denorm_src 0
		.amdhsa_exception_fp_ieee_div_zero 0
		.amdhsa_exception_fp_ieee_overflow 0
		.amdhsa_exception_fp_ieee_underflow 0
		.amdhsa_exception_fp_ieee_inexact 0
		.amdhsa_exception_int_div_zero 0
	.end_amdhsa_kernel
	.section	.text._ZN7rocprim6detail31init_lookback_scan_state_kernelINS0_19lookback_scan_stateIdLb1ELb1EEEEEvT_jjPNS4_10value_typeE,"axG",@progbits,_ZN7rocprim6detail31init_lookback_scan_state_kernelINS0_19lookback_scan_stateIdLb1ELb1EEEEEvT_jjPNS4_10value_typeE,comdat
.Lfunc_end0:
	.size	_ZN7rocprim6detail31init_lookback_scan_state_kernelINS0_19lookback_scan_stateIdLb1ELb1EEEEEvT_jjPNS4_10value_typeE, .Lfunc_end0-_ZN7rocprim6detail31init_lookback_scan_state_kernelINS0_19lookback_scan_stateIdLb1ELb1EEEEEvT_jjPNS4_10value_typeE
                                        ; -- End function
	.set _ZN7rocprim6detail31init_lookback_scan_state_kernelINS0_19lookback_scan_stateIdLb1ELb1EEEEEvT_jjPNS4_10value_typeE.num_vgpr, 8
	.set _ZN7rocprim6detail31init_lookback_scan_state_kernelINS0_19lookback_scan_stateIdLb1ELb1EEEEEvT_jjPNS4_10value_typeE.num_agpr, 0
	.set _ZN7rocprim6detail31init_lookback_scan_state_kernelINS0_19lookback_scan_stateIdLb1ELb1EEEEEvT_jjPNS4_10value_typeE.numbered_sgpr, 14
	.set _ZN7rocprim6detail31init_lookback_scan_state_kernelINS0_19lookback_scan_stateIdLb1ELb1EEEEEvT_jjPNS4_10value_typeE.num_named_barrier, 0
	.set _ZN7rocprim6detail31init_lookback_scan_state_kernelINS0_19lookback_scan_stateIdLb1ELb1EEEEEvT_jjPNS4_10value_typeE.private_seg_size, 0
	.set _ZN7rocprim6detail31init_lookback_scan_state_kernelINS0_19lookback_scan_stateIdLb1ELb1EEEEEvT_jjPNS4_10value_typeE.uses_vcc, 1
	.set _ZN7rocprim6detail31init_lookback_scan_state_kernelINS0_19lookback_scan_stateIdLb1ELb1EEEEEvT_jjPNS4_10value_typeE.uses_flat_scratch, 0
	.set _ZN7rocprim6detail31init_lookback_scan_state_kernelINS0_19lookback_scan_stateIdLb1ELb1EEEEEvT_jjPNS4_10value_typeE.has_dyn_sized_stack, 0
	.set _ZN7rocprim6detail31init_lookback_scan_state_kernelINS0_19lookback_scan_stateIdLb1ELb1EEEEEvT_jjPNS4_10value_typeE.has_recursion, 0
	.set _ZN7rocprim6detail31init_lookback_scan_state_kernelINS0_19lookback_scan_stateIdLb1ELb1EEEEEvT_jjPNS4_10value_typeE.has_indirect_call, 0
	.section	.AMDGPU.csdata,"",@progbits
; Kernel info:
; codeLenInByte = 404
; TotalNumSgprs: 18
; NumVgprs: 8
; ScratchSize: 0
; MemoryBound: 0
; FloatMode: 240
; IeeeMode: 1
; LDSByteSize: 0 bytes/workgroup (compile time only)
; SGPRBlocks: 2
; VGPRBlocks: 1
; NumSGPRsForWavesPerEU: 18
; NumVGPRsForWavesPerEU: 8
; Occupancy: 10
; WaveLimiterHint : 0
; COMPUTE_PGM_RSRC2:SCRATCH_EN: 0
; COMPUTE_PGM_RSRC2:USER_SGPR: 6
; COMPUTE_PGM_RSRC2:TRAP_HANDLER: 0
; COMPUTE_PGM_RSRC2:TGID_X_EN: 1
; COMPUTE_PGM_RSRC2:TGID_Y_EN: 0
; COMPUTE_PGM_RSRC2:TGID_Z_EN: 0
; COMPUTE_PGM_RSRC2:TIDIG_COMP_CNT: 0
	.section	.text._ZN7rocprim6detail31init_lookback_scan_state_kernelINS0_19lookback_scan_stateIdLb0ELb1EEEEEvT_jjPNS4_10value_typeE,"axG",@progbits,_ZN7rocprim6detail31init_lookback_scan_state_kernelINS0_19lookback_scan_stateIdLb0ELb1EEEEEvT_jjPNS4_10value_typeE,comdat
	.protected	_ZN7rocprim6detail31init_lookback_scan_state_kernelINS0_19lookback_scan_stateIdLb0ELb1EEEEEvT_jjPNS4_10value_typeE ; -- Begin function _ZN7rocprim6detail31init_lookback_scan_state_kernelINS0_19lookback_scan_stateIdLb0ELb1EEEEEvT_jjPNS4_10value_typeE
	.globl	_ZN7rocprim6detail31init_lookback_scan_state_kernelINS0_19lookback_scan_stateIdLb0ELb1EEEEEvT_jjPNS4_10value_typeE
	.p2align	8
	.type	_ZN7rocprim6detail31init_lookback_scan_state_kernelINS0_19lookback_scan_stateIdLb0ELb1EEEEEvT_jjPNS4_10value_typeE,@function
_ZN7rocprim6detail31init_lookback_scan_state_kernelINS0_19lookback_scan_stateIdLb0ELb1EEEEEvT_jjPNS4_10value_typeE: ; @_ZN7rocprim6detail31init_lookback_scan_state_kernelINS0_19lookback_scan_stateIdLb0ELb1EEEEEvT_jjPNS4_10value_typeE
; %bb.0:
	s_load_dword s7, s[4:5], 0x24
	s_load_dwordx2 s[8:9], s[4:5], 0x10
	s_load_dwordx4 s[0:3], s[4:5], 0x0
	s_waitcnt lgkmcnt(0)
	s_and_b32 s4, s7, 0xffff
	s_mul_i32 s6, s6, s4
	s_cmp_eq_u64 s[8:9], 0
	v_add_u32_e32 v0, s6, v0
	s_cbranch_scc1 .LBB1_8
; %bb.1:
	s_cmp_lt_u32 s3, s2
	s_cselect_b32 s4, s3, 0
	s_mov_b32 s7, 0
	v_cmp_eq_u32_e32 vcc, s4, v0
	s_and_saveexec_b64 s[4:5], vcc
	s_cbranch_execz .LBB1_7
; %bb.2:
	s_add_i32 s6, s3, 64
	s_lshl_b64 s[6:7], s[6:7], 4
	s_add_u32 s12, s0, s6
	s_addc_u32 s13, s1, s7
	v_mov_b32_e32 v1, s12
	v_mov_b32_e32 v2, s13
	;;#ASMSTART
	global_load_dwordx4 v[1:4], v[1:2] off glc	
s_waitcnt vmcnt(0)
	;;#ASMEND
	v_and_b32_e32 v4, 0xff, v3
	v_mov_b32_e32 v5, 0
	v_cmp_eq_u64_e32 vcc, 0, v[4:5]
	s_mov_b64 s[10:11], 0
	s_and_saveexec_b64 s[6:7], vcc
	s_cbranch_execz .LBB1_6
; %bb.3:
	v_mov_b32_e32 v6, s12
	v_mov_b32_e32 v7, s13
.LBB1_4:                                ; =>This Inner Loop Header: Depth=1
	;;#ASMSTART
	global_load_dwordx4 v[1:4], v[6:7] off glc	
s_waitcnt vmcnt(0)
	;;#ASMEND
	v_and_b32_e32 v4, 0xff, v3
	v_cmp_ne_u64_e32 vcc, 0, v[4:5]
	s_or_b64 s[10:11], vcc, s[10:11]
	s_andn2_b64 exec, exec, s[10:11]
	s_cbranch_execnz .LBB1_4
; %bb.5:
	s_or_b64 exec, exec, s[10:11]
.LBB1_6:
	s_or_b64 exec, exec, s[6:7]
	v_mov_b32_e32 v3, 0
	global_store_dwordx2 v3, v[1:2], s[8:9]
.LBB1_7:
	s_or_b64 exec, exec, s[4:5]
.LBB1_8:
	v_cmp_gt_u32_e32 vcc, s2, v0
	s_and_saveexec_b64 s[2:3], vcc
	s_cbranch_execnz .LBB1_11
; %bb.9:
	s_or_b64 exec, exec, s[2:3]
	v_cmp_gt_u32_e32 vcc, 64, v0
	s_and_saveexec_b64 s[2:3], vcc
	s_cbranch_execnz .LBB1_12
.LBB1_10:
	s_endpgm
.LBB1_11:
	v_add_u32_e32 v1, 64, v0
	v_mov_b32_e32 v2, 0
	v_lshlrev_b64 v[3:4], 4, v[1:2]
	v_mov_b32_e32 v1, s1
	v_add_co_u32_e32 v5, vcc, s0, v3
	v_addc_co_u32_e32 v6, vcc, v1, v4, vcc
	v_mov_b32_e32 v1, v2
	v_mov_b32_e32 v3, v2
	;; [unrolled: 1-line block ×3, first 2 shown]
	global_store_dwordx4 v[5:6], v[1:4], off
	s_or_b64 exec, exec, s[2:3]
	v_cmp_gt_u32_e32 vcc, 64, v0
	s_and_saveexec_b64 s[2:3], vcc
	s_cbranch_execz .LBB1_10
.LBB1_12:
	v_mov_b32_e32 v1, 0
	v_lshlrev_b64 v[2:3], 4, v[0:1]
	v_mov_b32_e32 v0, s1
	v_add_co_u32_e32 v4, vcc, s0, v2
	v_addc_co_u32_e32 v5, vcc, v0, v3, vcc
	v_mov_b32_e32 v2, 0xff
	v_mov_b32_e32 v0, v1
	;; [unrolled: 1-line block ×3, first 2 shown]
	global_store_dwordx4 v[4:5], v[0:3], off
	s_endpgm
	.section	.rodata,"a",@progbits
	.p2align	6, 0x0
	.amdhsa_kernel _ZN7rocprim6detail31init_lookback_scan_state_kernelINS0_19lookback_scan_stateIdLb0ELb1EEEEEvT_jjPNS4_10value_typeE
		.amdhsa_group_segment_fixed_size 0
		.amdhsa_private_segment_fixed_size 0
		.amdhsa_kernarg_size 280
		.amdhsa_user_sgpr_count 6
		.amdhsa_user_sgpr_private_segment_buffer 1
		.amdhsa_user_sgpr_dispatch_ptr 0
		.amdhsa_user_sgpr_queue_ptr 0
		.amdhsa_user_sgpr_kernarg_segment_ptr 1
		.amdhsa_user_sgpr_dispatch_id 0
		.amdhsa_user_sgpr_flat_scratch_init 0
		.amdhsa_user_sgpr_private_segment_size 0
		.amdhsa_uses_dynamic_stack 0
		.amdhsa_system_sgpr_private_segment_wavefront_offset 0
		.amdhsa_system_sgpr_workgroup_id_x 1
		.amdhsa_system_sgpr_workgroup_id_y 0
		.amdhsa_system_sgpr_workgroup_id_z 0
		.amdhsa_system_sgpr_workgroup_info 0
		.amdhsa_system_vgpr_workitem_id 0
		.amdhsa_next_free_vgpr 8
		.amdhsa_next_free_sgpr 14
		.amdhsa_reserve_vcc 1
		.amdhsa_reserve_flat_scratch 0
		.amdhsa_float_round_mode_32 0
		.amdhsa_float_round_mode_16_64 0
		.amdhsa_float_denorm_mode_32 3
		.amdhsa_float_denorm_mode_16_64 3
		.amdhsa_dx10_clamp 1
		.amdhsa_ieee_mode 1
		.amdhsa_fp16_overflow 0
		.amdhsa_exception_fp_ieee_invalid_op 0
		.amdhsa_exception_fp_denorm_src 0
		.amdhsa_exception_fp_ieee_div_zero 0
		.amdhsa_exception_fp_ieee_overflow 0
		.amdhsa_exception_fp_ieee_underflow 0
		.amdhsa_exception_fp_ieee_inexact 0
		.amdhsa_exception_int_div_zero 0
	.end_amdhsa_kernel
	.section	.text._ZN7rocprim6detail31init_lookback_scan_state_kernelINS0_19lookback_scan_stateIdLb0ELb1EEEEEvT_jjPNS4_10value_typeE,"axG",@progbits,_ZN7rocprim6detail31init_lookback_scan_state_kernelINS0_19lookback_scan_stateIdLb0ELb1EEEEEvT_jjPNS4_10value_typeE,comdat
.Lfunc_end1:
	.size	_ZN7rocprim6detail31init_lookback_scan_state_kernelINS0_19lookback_scan_stateIdLb0ELb1EEEEEvT_jjPNS4_10value_typeE, .Lfunc_end1-_ZN7rocprim6detail31init_lookback_scan_state_kernelINS0_19lookback_scan_stateIdLb0ELb1EEEEEvT_jjPNS4_10value_typeE
                                        ; -- End function
	.set _ZN7rocprim6detail31init_lookback_scan_state_kernelINS0_19lookback_scan_stateIdLb0ELb1EEEEEvT_jjPNS4_10value_typeE.num_vgpr, 8
	.set _ZN7rocprim6detail31init_lookback_scan_state_kernelINS0_19lookback_scan_stateIdLb0ELb1EEEEEvT_jjPNS4_10value_typeE.num_agpr, 0
	.set _ZN7rocprim6detail31init_lookback_scan_state_kernelINS0_19lookback_scan_stateIdLb0ELb1EEEEEvT_jjPNS4_10value_typeE.numbered_sgpr, 14
	.set _ZN7rocprim6detail31init_lookback_scan_state_kernelINS0_19lookback_scan_stateIdLb0ELb1EEEEEvT_jjPNS4_10value_typeE.num_named_barrier, 0
	.set _ZN7rocprim6detail31init_lookback_scan_state_kernelINS0_19lookback_scan_stateIdLb0ELb1EEEEEvT_jjPNS4_10value_typeE.private_seg_size, 0
	.set _ZN7rocprim6detail31init_lookback_scan_state_kernelINS0_19lookback_scan_stateIdLb0ELb1EEEEEvT_jjPNS4_10value_typeE.uses_vcc, 1
	.set _ZN7rocprim6detail31init_lookback_scan_state_kernelINS0_19lookback_scan_stateIdLb0ELb1EEEEEvT_jjPNS4_10value_typeE.uses_flat_scratch, 0
	.set _ZN7rocprim6detail31init_lookback_scan_state_kernelINS0_19lookback_scan_stateIdLb0ELb1EEEEEvT_jjPNS4_10value_typeE.has_dyn_sized_stack, 0
	.set _ZN7rocprim6detail31init_lookback_scan_state_kernelINS0_19lookback_scan_stateIdLb0ELb1EEEEEvT_jjPNS4_10value_typeE.has_recursion, 0
	.set _ZN7rocprim6detail31init_lookback_scan_state_kernelINS0_19lookback_scan_stateIdLb0ELb1EEEEEvT_jjPNS4_10value_typeE.has_indirect_call, 0
	.section	.AMDGPU.csdata,"",@progbits
; Kernel info:
; codeLenInByte = 364
; TotalNumSgprs: 18
; NumVgprs: 8
; ScratchSize: 0
; MemoryBound: 0
; FloatMode: 240
; IeeeMode: 1
; LDSByteSize: 0 bytes/workgroup (compile time only)
; SGPRBlocks: 2
; VGPRBlocks: 1
; NumSGPRsForWavesPerEU: 18
; NumVGPRsForWavesPerEU: 8
; Occupancy: 10
; WaveLimiterHint : 0
; COMPUTE_PGM_RSRC2:SCRATCH_EN: 0
; COMPUTE_PGM_RSRC2:USER_SGPR: 6
; COMPUTE_PGM_RSRC2:TRAP_HANDLER: 0
; COMPUTE_PGM_RSRC2:TGID_X_EN: 1
; COMPUTE_PGM_RSRC2:TGID_Y_EN: 0
; COMPUTE_PGM_RSRC2:TGID_Z_EN: 0
; COMPUTE_PGM_RSRC2:TIDIG_COMP_CNT: 0
	.section	.text._ZN7rocprim6detail20lookback_scan_kernelILNS0_25lookback_scan_determinismE0ELb1ENS0_19wrapped_scan_configINS_14default_configEdEEPdS6_N4RAJA9operators4plusIdddEEddNS0_19lookback_scan_stateIdLb1ELb1EEEEEvT2_T3_mT5_T4_T7_jPT6_SJ_bb,"axG",@progbits,_ZN7rocprim6detail20lookback_scan_kernelILNS0_25lookback_scan_determinismE0ELb1ENS0_19wrapped_scan_configINS_14default_configEdEEPdS6_N4RAJA9operators4plusIdddEEddNS0_19lookback_scan_stateIdLb1ELb1EEEEEvT2_T3_mT5_T4_T7_jPT6_SJ_bb,comdat
	.protected	_ZN7rocprim6detail20lookback_scan_kernelILNS0_25lookback_scan_determinismE0ELb1ENS0_19wrapped_scan_configINS_14default_configEdEEPdS6_N4RAJA9operators4plusIdddEEddNS0_19lookback_scan_stateIdLb1ELb1EEEEEvT2_T3_mT5_T4_T7_jPT6_SJ_bb ; -- Begin function _ZN7rocprim6detail20lookback_scan_kernelILNS0_25lookback_scan_determinismE0ELb1ENS0_19wrapped_scan_configINS_14default_configEdEEPdS6_N4RAJA9operators4plusIdddEEddNS0_19lookback_scan_stateIdLb1ELb1EEEEEvT2_T3_mT5_T4_T7_jPT6_SJ_bb
	.globl	_ZN7rocprim6detail20lookback_scan_kernelILNS0_25lookback_scan_determinismE0ELb1ENS0_19wrapped_scan_configINS_14default_configEdEEPdS6_N4RAJA9operators4plusIdddEEddNS0_19lookback_scan_stateIdLb1ELb1EEEEEvT2_T3_mT5_T4_T7_jPT6_SJ_bb
	.p2align	8
	.type	_ZN7rocprim6detail20lookback_scan_kernelILNS0_25lookback_scan_determinismE0ELb1ENS0_19wrapped_scan_configINS_14default_configEdEEPdS6_N4RAJA9operators4plusIdddEEddNS0_19lookback_scan_stateIdLb1ELb1EEEEEvT2_T3_mT5_T4_T7_jPT6_SJ_bb,@function
_ZN7rocprim6detail20lookback_scan_kernelILNS0_25lookback_scan_determinismE0ELb1ENS0_19wrapped_scan_configINS_14default_configEdEEPdS6_N4RAJA9operators4plusIdddEEddNS0_19lookback_scan_stateIdLb1ELb1EEEEEvT2_T3_mT5_T4_T7_jPT6_SJ_bb: ; @_ZN7rocprim6detail20lookback_scan_kernelILNS0_25lookback_scan_determinismE0ELb1ENS0_19wrapped_scan_configINS_14default_configEdEEPdS6_N4RAJA9operators4plusIdddEEddNS0_19lookback_scan_stateIdLb1ELb1EEEEEvT2_T3_mT5_T4_T7_jPT6_SJ_bb
; %bb.0:
	s_endpgm
	.section	.rodata,"a",@progbits
	.p2align	6, 0x0
	.amdhsa_kernel _ZN7rocprim6detail20lookback_scan_kernelILNS0_25lookback_scan_determinismE0ELb1ENS0_19wrapped_scan_configINS_14default_configEdEEPdS6_N4RAJA9operators4plusIdddEEddNS0_19lookback_scan_stateIdLb1ELb1EEEEEvT2_T3_mT5_T4_T7_jPT6_SJ_bb
		.amdhsa_group_segment_fixed_size 0
		.amdhsa_private_segment_fixed_size 0
		.amdhsa_kernarg_size 76
		.amdhsa_user_sgpr_count 6
		.amdhsa_user_sgpr_private_segment_buffer 1
		.amdhsa_user_sgpr_dispatch_ptr 0
		.amdhsa_user_sgpr_queue_ptr 0
		.amdhsa_user_sgpr_kernarg_segment_ptr 1
		.amdhsa_user_sgpr_dispatch_id 0
		.amdhsa_user_sgpr_flat_scratch_init 0
		.amdhsa_user_sgpr_private_segment_size 0
		.amdhsa_uses_dynamic_stack 0
		.amdhsa_system_sgpr_private_segment_wavefront_offset 0
		.amdhsa_system_sgpr_workgroup_id_x 1
		.amdhsa_system_sgpr_workgroup_id_y 0
		.amdhsa_system_sgpr_workgroup_id_z 0
		.amdhsa_system_sgpr_workgroup_info 0
		.amdhsa_system_vgpr_workitem_id 0
		.amdhsa_next_free_vgpr 1
		.amdhsa_next_free_sgpr 0
		.amdhsa_reserve_vcc 0
		.amdhsa_reserve_flat_scratch 0
		.amdhsa_float_round_mode_32 0
		.amdhsa_float_round_mode_16_64 0
		.amdhsa_float_denorm_mode_32 3
		.amdhsa_float_denorm_mode_16_64 3
		.amdhsa_dx10_clamp 1
		.amdhsa_ieee_mode 1
		.amdhsa_fp16_overflow 0
		.amdhsa_exception_fp_ieee_invalid_op 0
		.amdhsa_exception_fp_denorm_src 0
		.amdhsa_exception_fp_ieee_div_zero 0
		.amdhsa_exception_fp_ieee_overflow 0
		.amdhsa_exception_fp_ieee_underflow 0
		.amdhsa_exception_fp_ieee_inexact 0
		.amdhsa_exception_int_div_zero 0
	.end_amdhsa_kernel
	.section	.text._ZN7rocprim6detail20lookback_scan_kernelILNS0_25lookback_scan_determinismE0ELb1ENS0_19wrapped_scan_configINS_14default_configEdEEPdS6_N4RAJA9operators4plusIdddEEddNS0_19lookback_scan_stateIdLb1ELb1EEEEEvT2_T3_mT5_T4_T7_jPT6_SJ_bb,"axG",@progbits,_ZN7rocprim6detail20lookback_scan_kernelILNS0_25lookback_scan_determinismE0ELb1ENS0_19wrapped_scan_configINS_14default_configEdEEPdS6_N4RAJA9operators4plusIdddEEddNS0_19lookback_scan_stateIdLb1ELb1EEEEEvT2_T3_mT5_T4_T7_jPT6_SJ_bb,comdat
.Lfunc_end2:
	.size	_ZN7rocprim6detail20lookback_scan_kernelILNS0_25lookback_scan_determinismE0ELb1ENS0_19wrapped_scan_configINS_14default_configEdEEPdS6_N4RAJA9operators4plusIdddEEddNS0_19lookback_scan_stateIdLb1ELb1EEEEEvT2_T3_mT5_T4_T7_jPT6_SJ_bb, .Lfunc_end2-_ZN7rocprim6detail20lookback_scan_kernelILNS0_25lookback_scan_determinismE0ELb1ENS0_19wrapped_scan_configINS_14default_configEdEEPdS6_N4RAJA9operators4plusIdddEEddNS0_19lookback_scan_stateIdLb1ELb1EEEEEvT2_T3_mT5_T4_T7_jPT6_SJ_bb
                                        ; -- End function
	.set _ZN7rocprim6detail20lookback_scan_kernelILNS0_25lookback_scan_determinismE0ELb1ENS0_19wrapped_scan_configINS_14default_configEdEEPdS6_N4RAJA9operators4plusIdddEEddNS0_19lookback_scan_stateIdLb1ELb1EEEEEvT2_T3_mT5_T4_T7_jPT6_SJ_bb.num_vgpr, 0
	.set _ZN7rocprim6detail20lookback_scan_kernelILNS0_25lookback_scan_determinismE0ELb1ENS0_19wrapped_scan_configINS_14default_configEdEEPdS6_N4RAJA9operators4plusIdddEEddNS0_19lookback_scan_stateIdLb1ELb1EEEEEvT2_T3_mT5_T4_T7_jPT6_SJ_bb.num_agpr, 0
	.set _ZN7rocprim6detail20lookback_scan_kernelILNS0_25lookback_scan_determinismE0ELb1ENS0_19wrapped_scan_configINS_14default_configEdEEPdS6_N4RAJA9operators4plusIdddEEddNS0_19lookback_scan_stateIdLb1ELb1EEEEEvT2_T3_mT5_T4_T7_jPT6_SJ_bb.numbered_sgpr, 0
	.set _ZN7rocprim6detail20lookback_scan_kernelILNS0_25lookback_scan_determinismE0ELb1ENS0_19wrapped_scan_configINS_14default_configEdEEPdS6_N4RAJA9operators4plusIdddEEddNS0_19lookback_scan_stateIdLb1ELb1EEEEEvT2_T3_mT5_T4_T7_jPT6_SJ_bb.num_named_barrier, 0
	.set _ZN7rocprim6detail20lookback_scan_kernelILNS0_25lookback_scan_determinismE0ELb1ENS0_19wrapped_scan_configINS_14default_configEdEEPdS6_N4RAJA9operators4plusIdddEEddNS0_19lookback_scan_stateIdLb1ELb1EEEEEvT2_T3_mT5_T4_T7_jPT6_SJ_bb.private_seg_size, 0
	.set _ZN7rocprim6detail20lookback_scan_kernelILNS0_25lookback_scan_determinismE0ELb1ENS0_19wrapped_scan_configINS_14default_configEdEEPdS6_N4RAJA9operators4plusIdddEEddNS0_19lookback_scan_stateIdLb1ELb1EEEEEvT2_T3_mT5_T4_T7_jPT6_SJ_bb.uses_vcc, 0
	.set _ZN7rocprim6detail20lookback_scan_kernelILNS0_25lookback_scan_determinismE0ELb1ENS0_19wrapped_scan_configINS_14default_configEdEEPdS6_N4RAJA9operators4plusIdddEEddNS0_19lookback_scan_stateIdLb1ELb1EEEEEvT2_T3_mT5_T4_T7_jPT6_SJ_bb.uses_flat_scratch, 0
	.set _ZN7rocprim6detail20lookback_scan_kernelILNS0_25lookback_scan_determinismE0ELb1ENS0_19wrapped_scan_configINS_14default_configEdEEPdS6_N4RAJA9operators4plusIdddEEddNS0_19lookback_scan_stateIdLb1ELb1EEEEEvT2_T3_mT5_T4_T7_jPT6_SJ_bb.has_dyn_sized_stack, 0
	.set _ZN7rocprim6detail20lookback_scan_kernelILNS0_25lookback_scan_determinismE0ELb1ENS0_19wrapped_scan_configINS_14default_configEdEEPdS6_N4RAJA9operators4plusIdddEEddNS0_19lookback_scan_stateIdLb1ELb1EEEEEvT2_T3_mT5_T4_T7_jPT6_SJ_bb.has_recursion, 0
	.set _ZN7rocprim6detail20lookback_scan_kernelILNS0_25lookback_scan_determinismE0ELb1ENS0_19wrapped_scan_configINS_14default_configEdEEPdS6_N4RAJA9operators4plusIdddEEddNS0_19lookback_scan_stateIdLb1ELb1EEEEEvT2_T3_mT5_T4_T7_jPT6_SJ_bb.has_indirect_call, 0
	.section	.AMDGPU.csdata,"",@progbits
; Kernel info:
; codeLenInByte = 4
; TotalNumSgprs: 4
; NumVgprs: 0
; ScratchSize: 0
; MemoryBound: 0
; FloatMode: 240
; IeeeMode: 1
; LDSByteSize: 0 bytes/workgroup (compile time only)
; SGPRBlocks: 0
; VGPRBlocks: 0
; NumSGPRsForWavesPerEU: 4
; NumVGPRsForWavesPerEU: 1
; Occupancy: 10
; WaveLimiterHint : 0
; COMPUTE_PGM_RSRC2:SCRATCH_EN: 0
; COMPUTE_PGM_RSRC2:USER_SGPR: 6
; COMPUTE_PGM_RSRC2:TRAP_HANDLER: 0
; COMPUTE_PGM_RSRC2:TGID_X_EN: 1
; COMPUTE_PGM_RSRC2:TGID_Y_EN: 0
; COMPUTE_PGM_RSRC2:TGID_Z_EN: 0
; COMPUTE_PGM_RSRC2:TIDIG_COMP_CNT: 0
	.section	.text._ZN7rocprim6detail20lookback_scan_kernelILNS0_25lookback_scan_determinismE0ELb1ENS0_19wrapped_scan_configINS_14default_configEdEEPdS6_N4RAJA9operators4plusIdddEEddNS0_19lookback_scan_stateIdLb0ELb1EEEEEvT2_T3_mT5_T4_T7_jPT6_SJ_bb,"axG",@progbits,_ZN7rocprim6detail20lookback_scan_kernelILNS0_25lookback_scan_determinismE0ELb1ENS0_19wrapped_scan_configINS_14default_configEdEEPdS6_N4RAJA9operators4plusIdddEEddNS0_19lookback_scan_stateIdLb0ELb1EEEEEvT2_T3_mT5_T4_T7_jPT6_SJ_bb,comdat
	.protected	_ZN7rocprim6detail20lookback_scan_kernelILNS0_25lookback_scan_determinismE0ELb1ENS0_19wrapped_scan_configINS_14default_configEdEEPdS6_N4RAJA9operators4plusIdddEEddNS0_19lookback_scan_stateIdLb0ELb1EEEEEvT2_T3_mT5_T4_T7_jPT6_SJ_bb ; -- Begin function _ZN7rocprim6detail20lookback_scan_kernelILNS0_25lookback_scan_determinismE0ELb1ENS0_19wrapped_scan_configINS_14default_configEdEEPdS6_N4RAJA9operators4plusIdddEEddNS0_19lookback_scan_stateIdLb0ELb1EEEEEvT2_T3_mT5_T4_T7_jPT6_SJ_bb
	.globl	_ZN7rocprim6detail20lookback_scan_kernelILNS0_25lookback_scan_determinismE0ELb1ENS0_19wrapped_scan_configINS_14default_configEdEEPdS6_N4RAJA9operators4plusIdddEEddNS0_19lookback_scan_stateIdLb0ELb1EEEEEvT2_T3_mT5_T4_T7_jPT6_SJ_bb
	.p2align	8
	.type	_ZN7rocprim6detail20lookback_scan_kernelILNS0_25lookback_scan_determinismE0ELb1ENS0_19wrapped_scan_configINS_14default_configEdEEPdS6_N4RAJA9operators4plusIdddEEddNS0_19lookback_scan_stateIdLb0ELb1EEEEEvT2_T3_mT5_T4_T7_jPT6_SJ_bb,@function
_ZN7rocprim6detail20lookback_scan_kernelILNS0_25lookback_scan_determinismE0ELb1ENS0_19wrapped_scan_configINS_14default_configEdEEPdS6_N4RAJA9operators4plusIdddEEddNS0_19lookback_scan_stateIdLb0ELb1EEEEEvT2_T3_mT5_T4_T7_jPT6_SJ_bb: ; @_ZN7rocprim6detail20lookback_scan_kernelILNS0_25lookback_scan_determinismE0ELb1ENS0_19wrapped_scan_configINS_14default_configEdEEPdS6_N4RAJA9operators4plusIdddEEddNS0_19lookback_scan_stateIdLb0ELb1EEEEEvT2_T3_mT5_T4_T7_jPT6_SJ_bb
; %bb.0:
	s_load_dword s1, s[4:5], 0x30
	s_load_dwordx8 s[8:15], s[4:5], 0x0
	s_mul_i32 s0, s6, 0x500
	v_lshlrev_b32_e32 v39, 3, v0
	s_waitcnt lgkmcnt(0)
	s_add_i32 s2, s1, -1
	s_mul_i32 s3, s2, 0x500
	s_sub_u32 s26, s12, s3
	s_subb_u32 s27, s13, 0
	s_mov_b32 s1, 0
	s_cmp_lg_u32 s6, s2
	s_cselect_b64 s[12:13], -1, 0
	s_lshl_b64 s[16:17], s[0:1], 3
	s_add_u32 s18, s8, s16
	s_addc_u32 s19, s9, s17
	s_mov_b64 s[0:1], -1
	s_and_b64 vcc, exec, s[12:13]
	s_cbranch_vccz .LBB3_2
; %bb.1:
	v_mov_b32_e32 v1, s19
	v_add_co_u32_e32 v19, vcc, s18, v39
	v_addc_co_u32_e32 v20, vcc, 0, v1, vcc
	v_add_co_u32_e32 v9, vcc, 0x1000, v19
	v_addc_co_u32_e32 v10, vcc, 0, v20, vcc
	global_load_dwordx2 v[1:2], v39, s[18:19]
	global_load_dwordx2 v[3:4], v39, s[18:19] offset:1024
	global_load_dwordx2 v[5:6], v39, s[18:19] offset:2048
	;; [unrolled: 1-line block ×3, first 2 shown]
	global_load_dwordx2 v[11:12], v[9:10], off
	global_load_dwordx2 v[13:14], v[9:10], off offset:1024
	global_load_dwordx2 v[15:16], v[9:10], off offset:2048
	;; [unrolled: 1-line block ×3, first 2 shown]
	v_add_co_u32_e32 v9, vcc, 0x2000, v19
	v_addc_co_u32_e32 v10, vcc, 0, v20, vcc
	global_load_dwordx2 v[19:20], v[9:10], off
	global_load_dwordx2 v[21:22], v[9:10], off offset:1024
	s_mov_b64 s[0:1], 0
	s_waitcnt vmcnt(8)
	ds_write2st64_b64 v39, v[1:2], v[3:4] offset1:2
	s_waitcnt vmcnt(6)
	ds_write2st64_b64 v39, v[5:6], v[7:8] offset0:4 offset1:6
	s_waitcnt vmcnt(4)
	ds_write2st64_b64 v39, v[11:12], v[13:14] offset0:8 offset1:10
	;; [unrolled: 2-line block ×4, first 2 shown]
	s_waitcnt lgkmcnt(0)
	s_barrier
.LBB3_2:
	s_andn2_b64 vcc, exec, s[0:1]
	v_cmp_gt_u32_e64 s[0:1], s26, v0
	s_cbranch_vccnz .LBB3_24
; %bb.3:
	s_load_dwordx2 s[2:3], s[18:19], 0x0
	v_mov_b32_e32 v1, s19
	v_add_co_u32_e32 v3, vcc, s18, v39
	v_addc_co_u32_e32 v4, vcc, 0, v1, vcc
	s_waitcnt lgkmcnt(0)
	v_mov_b32_e32 v1, s2
	v_mov_b32_e32 v2, s3
	s_and_saveexec_b64 s[18:19], s[0:1]
	s_cbranch_execz .LBB3_5
; %bb.4:
	global_load_dwordx2 v[1:2], v[3:4], off
.LBB3_5:
	s_or_b64 exec, exec, s[18:19]
	v_or_b32_e32 v5, 0x80, v0
	v_cmp_gt_u32_e32 vcc, s26, v5
	v_mov_b32_e32 v6, s3
	v_mov_b32_e32 v5, s2
	s_and_saveexec_b64 s[0:1], vcc
	s_cbranch_execz .LBB3_7
; %bb.6:
	global_load_dwordx2 v[5:6], v[3:4], off offset:1024
.LBB3_7:
	s_or_b64 exec, exec, s[0:1]
	v_or_b32_e32 v7, 0x100, v0
	v_cmp_gt_u32_e32 vcc, s26, v7
	v_mov_b32_e32 v8, s3
	v_mov_b32_e32 v7, s2
	s_and_saveexec_b64 s[0:1], vcc
	s_cbranch_execz .LBB3_9
; %bb.8:
	global_load_dwordx2 v[7:8], v[3:4], off offset:2048
.LBB3_9:
	;; [unrolled: 10-line block ×3, first 2 shown]
	s_or_b64 exec, exec, s[0:1]
	v_or_b32_e32 v11, 0x200, v0
	v_cmp_gt_u32_e32 vcc, s26, v11
	v_mov_b32_e32 v12, s3
	v_mov_b32_e32 v11, s2
	s_and_saveexec_b64 s[0:1], vcc
	s_cbranch_execz .LBB3_13
; %bb.12:
	v_add_co_u32_e32 v11, vcc, 0x1000, v3
	v_addc_co_u32_e32 v12, vcc, 0, v4, vcc
	global_load_dwordx2 v[11:12], v[11:12], off
.LBB3_13:
	s_or_b64 exec, exec, s[0:1]
	v_or_b32_e32 v13, 0x280, v0
	v_cmp_gt_u32_e32 vcc, s26, v13
	v_mov_b32_e32 v14, s3
	v_mov_b32_e32 v13, s2
	s_and_saveexec_b64 s[0:1], vcc
	s_cbranch_execz .LBB3_15
; %bb.14:
	v_add_co_u32_e32 v13, vcc, 0x1000, v3
	v_addc_co_u32_e32 v14, vcc, 0, v4, vcc
	global_load_dwordx2 v[13:14], v[13:14], off offset:1024
.LBB3_15:
	s_or_b64 exec, exec, s[0:1]
	v_or_b32_e32 v15, 0x300, v0
	v_cmp_gt_u32_e32 vcc, s26, v15
	v_mov_b32_e32 v16, s3
	v_mov_b32_e32 v15, s2
	s_and_saveexec_b64 s[0:1], vcc
	s_cbranch_execz .LBB3_17
; %bb.16:
	v_add_co_u32_e32 v15, vcc, 0x1000, v3
	v_addc_co_u32_e32 v16, vcc, 0, v4, vcc
	global_load_dwordx2 v[15:16], v[15:16], off offset:2048
.LBB3_17:
	s_or_b64 exec, exec, s[0:1]
	v_or_b32_e32 v17, 0x380, v0
	v_cmp_gt_u32_e32 vcc, s26, v17
	v_mov_b32_e32 v18, s3
	v_mov_b32_e32 v17, s2
	s_and_saveexec_b64 s[0:1], vcc
	s_cbranch_execz .LBB3_19
; %bb.18:
	v_add_co_u32_e32 v17, vcc, 0x1000, v3
	v_addc_co_u32_e32 v18, vcc, 0, v4, vcc
	global_load_dwordx2 v[17:18], v[17:18], off offset:3072
.LBB3_19:
	s_or_b64 exec, exec, s[0:1]
	v_or_b32_e32 v19, 0x400, v0
	v_cmp_gt_u32_e32 vcc, s26, v19
	v_mov_b32_e32 v20, s3
	v_mov_b32_e32 v19, s2
	s_and_saveexec_b64 s[0:1], vcc
	s_cbranch_execz .LBB3_21
; %bb.20:
	v_add_co_u32_e32 v19, vcc, 0x2000, v3
	v_addc_co_u32_e32 v20, vcc, 0, v4, vcc
	global_load_dwordx2 v[19:20], v[19:20], off
.LBB3_21:
	s_or_b64 exec, exec, s[0:1]
	v_or_b32_e32 v21, 0x480, v0
	v_cmp_gt_u32_e32 vcc, s26, v21
	v_mov_b32_e32 v22, s3
	v_mov_b32_e32 v21, s2
	s_and_saveexec_b64 s[0:1], vcc
	s_cbranch_execz .LBB3_23
; %bb.22:
	v_add_co_u32_e32 v3, vcc, 0x2000, v3
	v_addc_co_u32_e32 v4, vcc, 0, v4, vcc
	global_load_dwordx2 v[21:22], v[3:4], off offset:1024
.LBB3_23:
	s_or_b64 exec, exec, s[0:1]
	s_waitcnt vmcnt(0)
	ds_write2st64_b64 v39, v[1:2], v[5:6] offset1:2
	ds_write2st64_b64 v39, v[7:8], v[9:10] offset0:4 offset1:6
	ds_write2st64_b64 v39, v[11:12], v[13:14] offset0:8 offset1:10
	;; [unrolled: 1-line block ×4, first 2 shown]
	s_waitcnt lgkmcnt(0)
	s_barrier
.LBB3_24:
	v_mul_u32_u24_e32 v40, 0x50, v0
	ds_read_b128 v[5:8], v40
	ds_read_b128 v[1:4], v40 offset:16
	s_load_dwordx2 s[18:19], s[4:5], 0x28
	ds_read_b128 v[17:20], v40 offset:32
	ds_read_b128 v[13:16], v40 offset:48
	s_cmp_lg_u32 s6, 0
	s_waitcnt lgkmcnt(0)
	v_add_f64 v[9:10], v[5:6], v[7:8]
	v_lshrrev_b32_e32 v41, 2, v0
	v_cmp_gt_u32_e32 vcc, 64, v0
	v_add_f64 v[29:30], v[1:2], v[9:10]
	ds_read_b128 v[9:12], v40 offset:64
	s_waitcnt lgkmcnt(0)
	s_barrier
	s_cbranch_scc0 .LBB3_74
; %bb.25:
	v_add_f64 v[21:22], v[3:4], v[29:30]
	v_add_f64 v[21:22], v[17:18], v[21:22]
	v_add_f64 v[21:22], v[19:20], v[21:22]
	v_add_f64 v[21:22], v[13:14], v[21:22]
	v_add_f64 v[21:22], v[15:16], v[21:22]
	v_add_f64 v[21:22], v[9:10], v[21:22]
	v_add_f64 v[31:32], v[11:12], v[21:22]
	v_and_b32_e32 v21, 24, v41
	v_lshl_add_u32 v21, v0, 3, v21
	ds_write_b64 v21, v[31:32]
	s_waitcnt lgkmcnt(0)
	s_barrier
	s_and_saveexec_b64 s[2:3], vcc
	s_cbranch_execz .LBB3_37
; %bb.26:
	v_lshrrev_b32_e32 v21, 1, v0
	v_and_b32_e32 v21, 56, v21
	v_lshlrev_b32_e32 v22, 4, v0
	v_add_u32_e32 v33, v21, v22
	ds_read2_b64 v[21:24], v33 offset1:1
	v_mbcnt_lo_u32_b32 v27, -1, 0
	v_mbcnt_hi_u32_b32 v34, -1, v27
	v_and_b32_e32 v35, 15, v34
	v_cmp_ne_u32_e64 s[0:1], 0, v35
	s_waitcnt lgkmcnt(0)
	v_add_f64 v[25:26], v[21:22], v[23:24]
	s_nop 1
	v_mov_b32_dpp v27, v25 row_shr:1 row_mask:0xf bank_mask:0xf
	v_mov_b32_dpp v28, v26 row_shr:1 row_mask:0xf bank_mask:0xf
	s_and_saveexec_b64 s[20:21], s[0:1]
; %bb.27:
	v_add_f64 v[25:26], v[25:26], v[27:28]
; %bb.28:
	s_or_b64 exec, exec, s[20:21]
	s_nop 0
	v_mov_b32_dpp v27, v25 row_shr:2 row_mask:0xf bank_mask:0xf
	v_mov_b32_dpp v28, v26 row_shr:2 row_mask:0xf bank_mask:0xf
	v_cmp_lt_u32_e64 s[0:1], 1, v35
	s_and_saveexec_b64 s[20:21], s[0:1]
; %bb.29:
	v_add_f64 v[25:26], v[25:26], v[27:28]
; %bb.30:
	s_or_b64 exec, exec, s[20:21]
	s_nop 0
	v_mov_b32_dpp v27, v25 row_shr:4 row_mask:0xf bank_mask:0xf
	v_mov_b32_dpp v28, v26 row_shr:4 row_mask:0xf bank_mask:0xf
	v_cmp_lt_u32_e64 s[0:1], 3, v35
	;; [unrolled: 9-line block ×3, first 2 shown]
	s_and_saveexec_b64 s[20:21], s[0:1]
; %bb.33:
	v_add_f64 v[25:26], v[25:26], v[27:28]
; %bb.34:
	s_or_b64 exec, exec, s[20:21]
	v_and_b32_e32 v35, 16, v34
	v_mov_b32_dpp v27, v25 row_bcast:15 row_mask:0xf bank_mask:0xf
	v_mov_b32_dpp v28, v26 row_bcast:15 row_mask:0xf bank_mask:0xf
	v_cmp_ne_u32_e64 s[0:1], 0, v35
	s_and_saveexec_b64 s[20:21], s[0:1]
; %bb.35:
	v_add_f64 v[25:26], v[25:26], v[27:28]
; %bb.36:
	s_or_b64 exec, exec, s[20:21]
	s_nop 0
	v_mov_b32_dpp v27, v25 row_bcast:31 row_mask:0xf bank_mask:0xf
	v_mov_b32_dpp v28, v26 row_bcast:31 row_mask:0xf bank_mask:0xf
	v_add_f64 v[27:28], v[25:26], v[27:28]
	v_add_u32_e32 v35, -1, v34
	v_and_b32_e32 v36, 64, v34
	v_cmp_lt_i32_e64 s[0:1], v35, v36
	v_cndmask_b32_e64 v35, v35, v34, s[0:1]
	v_cmp_lt_u32_e64 s[0:1], 31, v34
	v_cndmask_b32_e64 v26, v26, v28, s[0:1]
	v_cndmask_b32_e64 v25, v25, v27, s[0:1]
	v_lshlrev_b32_e32 v27, 2, v35
	ds_bpermute_b32 v25, v27, v25
	ds_bpermute_b32 v26, v27, v26
	v_cmp_eq_u32_e64 s[0:1], 0, v0
	s_waitcnt lgkmcnt(0)
	v_add_f64 v[21:22], v[21:22], v[25:26]
	v_cndmask_b32_e64 v22, v22, v32, s[0:1]
	v_cndmask_b32_e64 v21, v21, v31, s[0:1]
	v_add_f64 v[23:24], v[23:24], v[21:22]
	ds_write2_b64 v33, v[21:22], v[23:24] offset1:1
.LBB3_37:
	s_or_b64 exec, exec, s[2:3]
	v_cmp_eq_u32_e64 s[0:1], 0, v0
	v_cmp_ne_u32_e64 s[2:3], 0, v0
	s_waitcnt lgkmcnt(0)
	s_barrier
	s_and_saveexec_b64 s[20:21], s[2:3]
; %bb.38:
	v_add_u32_e32 v21, -1, v0
	v_lshrrev_b32_e32 v22, 2, v21
	v_and_b32_e32 v22, 0x3ffffff8, v22
	v_lshl_add_u32 v21, v21, 3, v22
	ds_read_b64 v[31:32], v21
; %bb.39:
	s_or_b64 exec, exec, s[20:21]
	s_and_saveexec_b64 s[20:21], vcc
	s_cbranch_execz .LBB3_79
; %bb.40:
	v_mov_b32_e32 v24, 0
	ds_read_b64 v[21:22], v24 offset:1040
	v_mbcnt_lo_u32_b32 v23, -1, 0
	v_mbcnt_hi_u32_b32 v36, -1, v23
	s_mov_b32 s25, 0
	v_cmp_eq_u32_e64 s[2:3], 0, v36
	s_and_saveexec_b64 s[22:23], s[2:3]
	s_cbranch_execz .LBB3_42
; %bb.41:
	s_add_i32 s24, s6, 64
	s_lshl_b64 s[24:25], s[24:25], 4
	s_add_u32 s24, s18, s24
	s_addc_u32 s25, s19, s25
	v_mov_b32_e32 v26, s25
	v_mov_b32_e32 v23, 1
	;; [unrolled: 1-line block ×3, first 2 shown]
	s_waitcnt lgkmcnt(0)
	;;#ASMSTART
	global_store_dwordx4 v[25:26], v[21:24] off	
s_waitcnt vmcnt(0)
	;;#ASMEND
.LBB3_42:
	s_or_b64 exec, exec, s[22:23]
	v_xad_u32 v33, v36, -1, s6
	v_add_u32_e32 v23, 64, v33
	v_lshlrev_b64 v[25:26], 4, v[23:24]
	v_mov_b32_e32 v23, s19
	v_add_co_u32_e32 v34, vcc, s18, v25
	v_addc_co_u32_e32 v35, vcc, v23, v26, vcc
	;;#ASMSTART
	global_load_dwordx4 v[25:28], v[34:35] off glc	
s_waitcnt vmcnt(0)
	;;#ASMEND
	v_cmp_eq_u16_sdwa s[24:25], v27, v24 src0_sel:BYTE_0 src1_sel:DWORD
	s_and_saveexec_b64 s[22:23], s[24:25]
	s_cbranch_execz .LBB3_46
; %bb.43:
	s_mov_b64 s[24:25], 0
	v_mov_b32_e32 v23, 0
.LBB3_44:                               ; =>This Inner Loop Header: Depth=1
	;;#ASMSTART
	global_load_dwordx4 v[25:28], v[34:35] off glc	
s_waitcnt vmcnt(0)
	;;#ASMEND
	v_cmp_ne_u16_sdwa s[28:29], v27, v23 src0_sel:BYTE_0 src1_sel:DWORD
	s_or_b64 s[24:25], s[28:29], s[24:25]
	s_andn2_b64 exec, exec, s[24:25]
	s_cbranch_execnz .LBB3_44
; %bb.45:
	s_or_b64 exec, exec, s[24:25]
.LBB3_46:
	s_or_b64 exec, exec, s[22:23]
	v_and_b32_e32 v37, 63, v36
	v_mov_b32_e32 v28, 2
	v_lshlrev_b64 v[23:24], v36, -1
	v_cmp_ne_u32_e32 vcc, 63, v37
	v_cmp_eq_u16_sdwa s[22:23], v27, v28 src0_sel:BYTE_0 src1_sel:DWORD
	v_addc_co_u32_e32 v34, vcc, 0, v36, vcc
	v_and_b32_e32 v28, s23, v24
	v_lshlrev_b32_e32 v42, 2, v34
	v_or_b32_e32 v28, 0x80000000, v28
	ds_bpermute_b32 v34, v42, v25
	ds_bpermute_b32 v35, v42, v26
	v_and_b32_e32 v38, s22, v23
	v_ffbl_b32_e32 v28, v28
	v_add_u32_e32 v28, 32, v28
	v_ffbl_b32_e32 v38, v38
	v_min_u32_e32 v28, v38, v28
	v_add_u32_e32 v43, 1, v36
	v_cmp_le_u32_e32 vcc, v43, v28
	s_and_saveexec_b64 s[22:23], vcc
	s_cbranch_execz .LBB3_48
; %bb.47:
	s_waitcnt lgkmcnt(0)
	v_add_f64 v[25:26], v[25:26], v[34:35]
.LBB3_48:
	s_or_b64 exec, exec, s[22:23]
	v_cmp_gt_u32_e32 vcc, 62, v37
	s_waitcnt lgkmcnt(1)
	v_cndmask_b32_e64 v34, 0, 2, vcc
	v_add_lshl_u32 v44, v34, v36, 2
	ds_bpermute_b32 v34, v44, v25
	s_waitcnt lgkmcnt(1)
	ds_bpermute_b32 v35, v44, v26
	v_add_u32_e32 v45, 2, v36
	v_cmp_le_u32_e32 vcc, v45, v28
	s_and_saveexec_b64 s[22:23], vcc
	s_cbranch_execz .LBB3_50
; %bb.49:
	s_waitcnt lgkmcnt(0)
	v_add_f64 v[25:26], v[25:26], v[34:35]
.LBB3_50:
	s_or_b64 exec, exec, s[22:23]
	v_cmp_gt_u32_e32 vcc, 60, v37
	s_waitcnt lgkmcnt(1)
	v_cndmask_b32_e64 v34, 0, 4, vcc
	v_add_lshl_u32 v46, v34, v36, 2
	ds_bpermute_b32 v34, v46, v25
	s_waitcnt lgkmcnt(1)
	ds_bpermute_b32 v35, v46, v26
	;; [unrolled: 16-line block ×4, first 2 shown]
	v_add_u32_e32 v51, 16, v36
	v_cmp_le_u32_e32 vcc, v51, v28
	s_and_saveexec_b64 s[22:23], vcc
	s_cbranch_execz .LBB3_56
; %bb.55:
	s_waitcnt lgkmcnt(0)
	v_add_f64 v[25:26], v[25:26], v[34:35]
.LBB3_56:
	s_or_b64 exec, exec, s[22:23]
	s_waitcnt lgkmcnt(1)
	v_mov_b32_e32 v34, 0x80
	v_lshl_or_b32 v52, v36, 2, v34
	ds_bpermute_b32 v34, v52, v25
	s_waitcnt lgkmcnt(1)
	ds_bpermute_b32 v35, v52, v26
	v_add_u32_e32 v53, 32, v36
	v_cmp_gt_u32_e32 vcc, v53, v28
	v_mov_b32_e32 v54, 2
	s_waitcnt lgkmcnt(0)
	v_add_f64 v[37:38], v[25:26], v[34:35]
	v_mov_b32_e32 v34, 0
	v_cndmask_b32_e32 v26, v38, v26, vcc
	v_cndmask_b32_e32 v25, v37, v25, vcc
	s_branch .LBB3_59
.LBB3_57:                               ;   in Loop: Header=BB3_59 Depth=1
	s_or_b64 exec, exec, s[22:23]
	s_waitcnt lgkmcnt(1)
	ds_bpermute_b32 v37, v52, v25
	s_waitcnt lgkmcnt(1)
	ds_bpermute_b32 v38, v52, v26
	v_cmp_gt_u32_e32 vcc, v53, v28
	v_subrev_u32_e32 v33, 64, v33
	s_mov_b64 s[22:23], 0
	s_waitcnt lgkmcnt(0)
	v_add_f64 v[37:38], v[25:26], v[37:38]
	v_cndmask_b32_e32 v26, v38, v26, vcc
	v_cndmask_b32_e32 v25, v37, v25, vcc
	v_add_f64 v[25:26], v[35:36], v[25:26]
.LBB3_58:                               ;   in Loop: Header=BB3_59 Depth=1
	s_and_b64 vcc, exec, s[22:23]
	s_cbranch_vccnz .LBB3_75
.LBB3_59:                               ; =>This Loop Header: Depth=1
                                        ;     Child Loop BB3_62 Depth 2
	v_mov_b32_e32 v36, v26
	v_cmp_ne_u16_sdwa s[22:23], v27, v54 src0_sel:BYTE_0 src1_sel:DWORD
	v_mov_b32_e32 v35, v25
	s_cmp_lg_u64 s[22:23], exec
	s_mov_b64 s[22:23], -1
                                        ; implicit-def: $vgpr25_vgpr26
                                        ; implicit-def: $vgpr27
	s_cbranch_scc1 .LBB3_58
; %bb.60:                               ;   in Loop: Header=BB3_59 Depth=1
	v_lshlrev_b64 v[25:26], 4, v[33:34]
	v_mov_b32_e32 v27, s19
	v_add_co_u32_e32 v37, vcc, s18, v25
	v_addc_co_u32_e32 v38, vcc, v27, v26, vcc
	;;#ASMSTART
	global_load_dwordx4 v[25:28], v[37:38] off glc	
s_waitcnt vmcnt(0)
	;;#ASMEND
	v_cmp_eq_u16_sdwa s[24:25], v27, v34 src0_sel:BYTE_0 src1_sel:DWORD
	s_and_saveexec_b64 s[22:23], s[24:25]
	s_cbranch_execz .LBB3_64
; %bb.61:                               ;   in Loop: Header=BB3_59 Depth=1
	s_mov_b64 s[24:25], 0
.LBB3_62:                               ;   Parent Loop BB3_59 Depth=1
                                        ; =>  This Inner Loop Header: Depth=2
	;;#ASMSTART
	global_load_dwordx4 v[25:28], v[37:38] off glc	
s_waitcnt vmcnt(0)
	;;#ASMEND
	v_cmp_ne_u16_sdwa s[28:29], v27, v34 src0_sel:BYTE_0 src1_sel:DWORD
	s_or_b64 s[24:25], s[28:29], s[24:25]
	s_andn2_b64 exec, exec, s[24:25]
	s_cbranch_execnz .LBB3_62
; %bb.63:                               ;   in Loop: Header=BB3_59 Depth=1
	s_or_b64 exec, exec, s[24:25]
.LBB3_64:                               ;   in Loop: Header=BB3_59 Depth=1
	s_or_b64 exec, exec, s[22:23]
	v_cmp_eq_u16_sdwa s[22:23], v27, v54 src0_sel:BYTE_0 src1_sel:DWORD
	v_and_b32_e32 v28, s23, v24
	v_or_b32_e32 v28, 0x80000000, v28
	ds_bpermute_b32 v37, v42, v25
	ds_bpermute_b32 v38, v42, v26
	v_and_b32_e32 v55, s22, v23
	v_ffbl_b32_e32 v28, v28
	v_add_u32_e32 v28, 32, v28
	v_ffbl_b32_e32 v55, v55
	v_min_u32_e32 v28, v55, v28
	v_cmp_le_u32_e32 vcc, v43, v28
	s_and_saveexec_b64 s[22:23], vcc
	s_cbranch_execz .LBB3_66
; %bb.65:                               ;   in Loop: Header=BB3_59 Depth=1
	s_waitcnt lgkmcnt(0)
	v_add_f64 v[25:26], v[25:26], v[37:38]
.LBB3_66:                               ;   in Loop: Header=BB3_59 Depth=1
	s_or_b64 exec, exec, s[22:23]
	s_waitcnt lgkmcnt(1)
	ds_bpermute_b32 v37, v44, v25
	s_waitcnt lgkmcnt(1)
	ds_bpermute_b32 v38, v44, v26
	v_cmp_le_u32_e32 vcc, v45, v28
	s_and_saveexec_b64 s[22:23], vcc
	s_cbranch_execz .LBB3_68
; %bb.67:                               ;   in Loop: Header=BB3_59 Depth=1
	s_waitcnt lgkmcnt(0)
	v_add_f64 v[25:26], v[25:26], v[37:38]
.LBB3_68:                               ;   in Loop: Header=BB3_59 Depth=1
	s_or_b64 exec, exec, s[22:23]
	s_waitcnt lgkmcnt(1)
	ds_bpermute_b32 v37, v46, v25
	s_waitcnt lgkmcnt(1)
	ds_bpermute_b32 v38, v46, v26
	;; [unrolled: 12-line block ×4, first 2 shown]
	v_cmp_le_u32_e32 vcc, v51, v28
	s_and_saveexec_b64 s[22:23], vcc
	s_cbranch_execz .LBB3_57
; %bb.73:                               ;   in Loop: Header=BB3_59 Depth=1
	s_waitcnt lgkmcnt(0)
	v_add_f64 v[25:26], v[25:26], v[37:38]
	s_branch .LBB3_57
.LBB3_74:
                                        ; implicit-def: $vgpr21_vgpr22
	s_load_dwordx4 s[0:3], s[4:5], 0x38
	s_cbranch_execnz .LBB3_80
	s_branch .LBB3_99
.LBB3_75:
	s_and_saveexec_b64 s[22:23], s[2:3]
	s_cbranch_execz .LBB3_77
; %bb.76:
	s_add_i32 s2, s6, 64
	s_mov_b32 s3, 0
	s_lshl_b64 s[2:3], s[2:3], 4
	s_add_u32 s2, s18, s2
	s_addc_u32 s3, s19, s3
	v_mov_b32_e32 v26, s3
	v_add_f64 v[21:22], v[21:22], v[35:36]
	v_mov_b32_e32 v23, 2
	v_mov_b32_e32 v24, 0
	;; [unrolled: 1-line block ×3, first 2 shown]
	;;#ASMSTART
	global_store_dwordx4 v[25:26], v[21:24] off	
s_waitcnt vmcnt(0)
	;;#ASMEND
.LBB3_77:
	s_or_b64 exec, exec, s[22:23]
	s_and_b64 exec, exec, s[0:1]
; %bb.78:
	v_mov_b32_e32 v21, 0
	ds_write_b64 v21, v[35:36]
.LBB3_79:
	s_or_b64 exec, exec, s[20:21]
	v_mov_b32_e32 v21, 0
	s_waitcnt lgkmcnt(0)
	s_barrier
	ds_read_b64 v[21:22], v21
	s_waitcnt lgkmcnt(0)
	v_add_f64 v[23:24], v[31:32], v[21:22]
	v_cndmask_b32_e64 v22, v24, v22, s[0:1]
	v_cndmask_b32_e64 v21, v23, v21, s[0:1]
	s_load_dwordx4 s[0:3], s[4:5], 0x38
	s_branch .LBB3_99
.LBB3_80:
	s_load_dword s6, s[4:5], 0x48
	v_mov_b32_e32 v26, s15
	v_mov_b32_e32 v25, s14
	s_waitcnt lgkmcnt(0)
	s_bitcmp0_b32 s6, 0
	s_cbranch_scc1 .LBB3_82
; %bb.81:
	v_mov_b32_e32 v25, 0
	global_load_dwordx2 v[21:22], v25, s[8:9] offset:-8
	global_load_dwordx2 v[23:24], v25, s[0:1]
	s_waitcnt vmcnt(0)
	v_add_f64 v[25:26], v[21:22], v[23:24]
.LBB3_82:
	v_add_f64 v[21:22], v[3:4], v[29:30]
	v_cmp_gt_u32_e32 vcc, 64, v0
	v_add_f64 v[21:22], v[17:18], v[21:22]
	v_add_f64 v[21:22], v[19:20], v[21:22]
	;; [unrolled: 1-line block ×6, first 2 shown]
	v_and_b32_e32 v21, 24, v41
	v_lshl_add_u32 v21, v0, 3, v21
	ds_write_b64 v21, v[11:12]
	s_waitcnt lgkmcnt(0)
	s_barrier
	s_and_saveexec_b64 s[0:1], vcc
	s_cbranch_execz .LBB3_94
; %bb.83:
	v_lshrrev_b32_e32 v21, 1, v0
	v_and_b32_e32 v21, 56, v21
	v_lshlrev_b32_e32 v22, 4, v0
	v_add_u32_e32 v31, v21, v22
	ds_read2_b64 v[21:24], v31 offset1:1
	v_mbcnt_lo_u32_b32 v29, -1, 0
	v_mbcnt_hi_u32_b32 v32, -1, v29
	v_and_b32_e32 v33, 15, v32
	v_cmp_ne_u32_e32 vcc, 0, v33
	s_waitcnt lgkmcnt(0)
	v_add_f64 v[27:28], v[21:22], v[23:24]
	s_nop 1
	v_mov_b32_dpp v29, v27 row_shr:1 row_mask:0xf bank_mask:0xf
	v_mov_b32_dpp v30, v28 row_shr:1 row_mask:0xf bank_mask:0xf
	s_and_saveexec_b64 s[6:7], vcc
; %bb.84:
	v_add_f64 v[27:28], v[27:28], v[29:30]
; %bb.85:
	s_or_b64 exec, exec, s[6:7]
	s_nop 0
	v_mov_b32_dpp v29, v27 row_shr:2 row_mask:0xf bank_mask:0xf
	v_mov_b32_dpp v30, v28 row_shr:2 row_mask:0xf bank_mask:0xf
	v_cmp_lt_u32_e32 vcc, 1, v33
	s_and_saveexec_b64 s[6:7], vcc
; %bb.86:
	v_add_f64 v[27:28], v[27:28], v[29:30]
; %bb.87:
	s_or_b64 exec, exec, s[6:7]
	s_nop 0
	v_mov_b32_dpp v29, v27 row_shr:4 row_mask:0xf bank_mask:0xf
	v_mov_b32_dpp v30, v28 row_shr:4 row_mask:0xf bank_mask:0xf
	v_cmp_lt_u32_e32 vcc, 3, v33
	;; [unrolled: 9-line block ×3, first 2 shown]
	s_and_saveexec_b64 s[6:7], vcc
; %bb.90:
	v_add_f64 v[27:28], v[27:28], v[29:30]
; %bb.91:
	s_or_b64 exec, exec, s[6:7]
	v_and_b32_e32 v33, 16, v32
	v_mov_b32_dpp v29, v27 row_bcast:15 row_mask:0xf bank_mask:0xf
	v_mov_b32_dpp v30, v28 row_bcast:15 row_mask:0xf bank_mask:0xf
	v_cmp_ne_u32_e32 vcc, 0, v33
	s_and_saveexec_b64 s[6:7], vcc
; %bb.92:
	v_add_f64 v[27:28], v[27:28], v[29:30]
; %bb.93:
	s_or_b64 exec, exec, s[6:7]
	s_nop 0
	v_mov_b32_dpp v29, v27 row_bcast:31 row_mask:0xf bank_mask:0xf
	v_mov_b32_dpp v30, v28 row_bcast:31 row_mask:0xf bank_mask:0xf
	v_add_f64 v[29:30], v[27:28], v[29:30]
	v_add_u32_e32 v33, -1, v32
	v_and_b32_e32 v34, 64, v32
	v_cmp_lt_i32_e32 vcc, v33, v34
	v_cndmask_b32_e32 v33, v33, v32, vcc
	v_cmp_lt_u32_e32 vcc, 31, v32
	v_cndmask_b32_e32 v28, v28, v30, vcc
	v_cndmask_b32_e32 v27, v27, v29, vcc
	v_lshlrev_b32_e32 v29, 2, v33
	ds_bpermute_b32 v27, v29, v27
	ds_bpermute_b32 v28, v29, v28
	v_cmp_eq_u32_e32 vcc, 0, v0
	s_waitcnt lgkmcnt(0)
	v_add_f64 v[21:22], v[21:22], v[27:28]
	v_cndmask_b32_e32 v12, v22, v12, vcc
	v_cndmask_b32_e32 v11, v21, v11, vcc
	v_add_f64 v[21:22], v[23:24], v[11:12]
	ds_write2_b64 v31, v[11:12], v[21:22] offset1:1
.LBB3_94:
	s_or_b64 exec, exec, s[0:1]
	v_mov_b32_e32 v21, v25
	v_cmp_eq_u32_e32 vcc, 0, v0
	v_cmp_ne_u32_e64 s[0:1], 0, v0
	v_mov_b32_e32 v22, v26
	s_waitcnt lgkmcnt(0)
	s_barrier
	s_and_saveexec_b64 s[6:7], s[0:1]
	s_cbranch_execz .LBB3_96
; %bb.95:
	v_add_u32_e32 v11, -1, v0
	v_lshrrev_b32_e32 v12, 2, v11
	v_and_b32_e32 v12, 0x3ffffff8, v12
	v_lshl_add_u32 v11, v11, 3, v12
	ds_read_b64 v[11:12], v11
	s_waitcnt lgkmcnt(0)
	v_add_f64 v[21:22], v[25:26], v[11:12]
.LBB3_96:
	s_or_b64 exec, exec, s[6:7]
	s_and_saveexec_b64 s[0:1], vcc
	s_cbranch_execz .LBB3_98
; %bb.97:
	v_mov_b32_e32 v27, 0
	ds_read_b64 v[11:12], v27 offset:1040
	s_add_u32 s6, s18, 0x400
	s_addc_u32 s7, s19, 0
	s_waitcnt lgkmcnt(0)
	v_add_f64 v[24:25], v[25:26], v[11:12]
	v_mov_b32_e32 v12, s7
	v_mov_b32_e32 v26, 2
	;; [unrolled: 1-line block ×3, first 2 shown]
	;;#ASMSTART
	global_store_dwordx4 v[11:12], v[24:27] off	
s_waitcnt vmcnt(0)
	;;#ASMEND
.LBB3_98:
	s_or_b64 exec, exec, s[0:1]
.LBB3_99:
	v_add_f64 v[23:24], v[5:6], v[21:22]
	s_waitcnt lgkmcnt(0)
	s_add_u32 s0, s10, s16
	s_addc_u32 s1, s11, s17
	s_mov_b64 s[6:7], -1
	s_and_b64 vcc, exec, s[12:13]
	s_barrier
	v_add_f64 v[29:30], v[7:8], v[23:24]
	v_add_f64 v[31:32], v[1:2], v[29:30]
	v_add_f64 v[25:26], v[3:4], v[31:32]
	v_add_f64 v[27:28], v[17:18], v[25:26]
	v_add_f64 v[5:6], v[19:20], v[27:28]
	v_add_f64 v[7:8], v[13:14], v[5:6]
	v_add_f64 v[1:2], v[15:16], v[7:8]
	v_add_f64 v[3:4], v[9:10], v[1:2]
	s_cbranch_vccz .LBB3_101
; %bb.100:
	ds_write_b128 v40, v[21:24]
	ds_write_b128 v40, v[29:32] offset:16
	ds_write_b128 v40, v[25:28] offset:32
	;; [unrolled: 1-line block ×4, first 2 shown]
	s_waitcnt lgkmcnt(0)
	s_barrier
	ds_read2st64_b64 v[9:12], v39 offset1:2
	ds_read2st64_b64 v[13:16], v39 offset0:4 offset1:6
	ds_read2st64_b64 v[17:20], v39 offset0:8 offset1:10
	;; [unrolled: 1-line block ×4, first 2 shown]
	v_mov_b32_e32 v37, s1
	v_add_co_u32_e32 v38, vcc, s0, v39
	v_addc_co_u32_e32 v37, vcc, 0, v37, vcc
	s_movk_i32 s6, 0x1000
	s_waitcnt lgkmcnt(4)
	global_store_dwordx2 v39, v[9:10], s[0:1]
	global_store_dwordx2 v39, v[11:12], s[0:1] offset:1024
	s_waitcnt lgkmcnt(3)
	global_store_dwordx2 v39, v[13:14], s[0:1] offset:2048
	global_store_dwordx2 v39, v[15:16], s[0:1] offset:3072
	v_add_co_u32_e32 v9, vcc, s6, v38
	v_addc_co_u32_e32 v10, vcc, 0, v37, vcc
	s_waitcnt lgkmcnt(2)
	global_store_dwordx2 v[9:10], v[17:18], off
	global_store_dwordx2 v[9:10], v[19:20], off offset:1024
	s_waitcnt lgkmcnt(1)
	global_store_dwordx2 v[9:10], v[33:34], off offset:2048
	global_store_dwordx2 v[9:10], v[35:36], off offset:3072
	v_add_co_u32_e32 v9, vcc, 0x2000, v38
	v_addc_co_u32_e32 v10, vcc, 0, v37, vcc
	s_waitcnt lgkmcnt(0)
	global_store_dwordx2 v[9:10], v[41:42], off
	global_store_dwordx2 v[9:10], v[43:44], off offset:1024
	s_mov_b64 s[6:7], 0
.LBB3_101:
	s_andn2_b64 vcc, exec, s[6:7]
	s_cbranch_vccnz .LBB3_157
; %bb.102:
	s_movk_i32 s6, 0xffb8
	v_mad_i32_i24 v18, v0, s6, v40
	ds_write_b128 v40, v[21:24]
	ds_write_b128 v40, v[29:32] offset:16
	ds_write_b128 v40, v[25:28] offset:32
	;; [unrolled: 1-line block ×4, first 2 shown]
	s_waitcnt vmcnt(0) lgkmcnt(0)
	s_barrier
	ds_read2st64_b64 v[2:5], v18 offset1:2
	ds_read2st64_b64 v[10:13], v18 offset0:4 offset1:6
	ds_read2st64_b64 v[6:9], v18 offset0:8 offset1:10
	;; [unrolled: 1-line block ×4, first 2 shown]
	v_mov_b32_e32 v23, s1
	v_add_co_u32_e32 v22, vcc, s0, v39
	v_addc_co_u32_e32 v23, vcc, 0, v23, vcc
	v_mov_b32_e32 v1, 0
	v_cmp_gt_u32_e32 vcc, s26, v0
	s_and_saveexec_b64 s[0:1], vcc
	s_cbranch_execz .LBB3_104
; %bb.103:
	s_waitcnt lgkmcnt(4)
	global_store_dwordx2 v[22:23], v[2:3], off
.LBB3_104:
	s_or_b64 exec, exec, s[0:1]
	v_or_b32_e32 v24, 0x80, v0
	v_cmp_gt_u32_e32 vcc, s26, v24
	s_and_saveexec_b64 s[0:1], vcc
	s_cbranch_execz .LBB3_106
; %bb.105:
	s_waitcnt lgkmcnt(4)
	global_store_dwordx2 v[22:23], v[4:5], off offset:1024
.LBB3_106:
	s_or_b64 exec, exec, s[0:1]
	v_or_b32_e32 v24, 0x100, v0
	v_cmp_gt_u32_e32 vcc, s26, v24
	s_and_saveexec_b64 s[0:1], vcc
	s_cbranch_execz .LBB3_108
; %bb.107:
	s_waitcnt lgkmcnt(3)
	global_store_dwordx2 v[22:23], v[10:11], off offset:2048
.LBB3_108:
	s_or_b64 exec, exec, s[0:1]
	v_or_b32_e32 v24, 0x180, v0
	v_cmp_gt_u32_e32 vcc, s26, v24
	s_and_saveexec_b64 s[0:1], vcc
	s_cbranch_execz .LBB3_110
; %bb.109:
	s_waitcnt lgkmcnt(3)
	global_store_dwordx2 v[22:23], v[12:13], off offset:3072
.LBB3_110:
	s_or_b64 exec, exec, s[0:1]
	v_or_b32_e32 v24, 0x200, v0
	v_cmp_gt_u32_e32 vcc, s26, v24
	s_and_saveexec_b64 s[0:1], vcc
	s_cbranch_execz .LBB3_112
; %bb.111:
	v_add_co_u32_e32 v24, vcc, 0x1000, v22
	v_addc_co_u32_e32 v25, vcc, 0, v23, vcc
	s_waitcnt lgkmcnt(2)
	global_store_dwordx2 v[24:25], v[6:7], off
.LBB3_112:
	s_or_b64 exec, exec, s[0:1]
	v_or_b32_e32 v24, 0x280, v0
	v_cmp_gt_u32_e32 vcc, s26, v24
	s_and_saveexec_b64 s[0:1], vcc
	s_cbranch_execz .LBB3_114
; %bb.113:
	v_add_co_u32_e32 v24, vcc, 0x1000, v22
	v_addc_co_u32_e32 v25, vcc, 0, v23, vcc
	s_waitcnt lgkmcnt(2)
	global_store_dwordx2 v[24:25], v[8:9], off offset:1024
.LBB3_114:
	s_or_b64 exec, exec, s[0:1]
	v_or_b32_e32 v24, 0x300, v0
	v_cmp_gt_u32_e32 vcc, s26, v24
	s_and_saveexec_b64 s[0:1], vcc
	s_cbranch_execz .LBB3_116
; %bb.115:
	v_add_co_u32_e32 v24, vcc, 0x1000, v22
	v_addc_co_u32_e32 v25, vcc, 0, v23, vcc
	s_waitcnt lgkmcnt(1)
	global_store_dwordx2 v[24:25], v[14:15], off offset:2048
.LBB3_116:
	;; [unrolled: 11-line block ×3, first 2 shown]
	s_or_b64 exec, exec, s[0:1]
	v_or_b32_e32 v24, 0x400, v0
	v_cmp_gt_u32_e32 vcc, s26, v24
	s_and_saveexec_b64 s[0:1], vcc
	s_cbranch_execz .LBB3_120
; %bb.119:
	v_add_co_u32_e32 v24, vcc, 0x2000, v22
	v_addc_co_u32_e32 v25, vcc, 0, v23, vcc
	s_waitcnt lgkmcnt(0)
	global_store_dwordx2 v[24:25], v[18:19], off
.LBB3_120:
	s_or_b64 exec, exec, s[0:1]
	v_or_b32_e32 v24, 0x480, v0
	v_cmp_gt_u32_e32 vcc, s26, v24
	s_and_saveexec_b64 s[0:1], vcc
	s_cbranch_execz .LBB3_122
; %bb.121:
	v_add_co_u32_e32 v22, vcc, 0x2000, v22
	v_addc_co_u32_e32 v23, vcc, 0, v23, vcc
	s_waitcnt lgkmcnt(0)
	global_store_dwordx2 v[22:23], v[20:21], off offset:1024
.LBB3_122:
	s_or_b64 exec, exec, s[0:1]
	s_load_dword s0, s[4:5], 0x48
	s_waitcnt lgkmcnt(0)
	s_bfe_u32 s0, s0, 0x10008
	s_cmp_eq_u32 s0, 0
	s_cbranch_scc1 .LBB3_157
; %bb.123:
	s_add_u32 s0, s26, -1
	s_addc_u32 s1, s27, -1
	s_mul_i32 s7, s1, 0xcccccccd
	s_mul_hi_u32 s8, s0, 0xcccccccd
	s_mul_hi_u32 s6, s1, 0xcccccccd
	s_add_u32 s7, s7, s8
	s_mul_i32 s5, s0, 0xcccccccc
	s_addc_u32 s6, s6, 0
	s_mul_hi_u32 s4, s0, 0xcccccccc
	s_add_u32 s5, s5, s7
	s_addc_u32 s4, s4, 0
	s_add_u32 s4, s6, s4
	s_addc_u32 s5, 0, 0
	s_mul_i32 s7, s1, 0xcccccccc
	s_mul_hi_u32 s6, s1, 0xcccccccc
	s_add_u32 s4, s7, s4
	s_addc_u32 s5, s6, s5
	s_lshr_b64 s[4:5], s[4:5], 3
	v_cmp_eq_u64_e32 vcc, s[4:5], v[0:1]
	s_and_saveexec_b64 s[4:5], vcc
	s_cbranch_execz .LBB3_157
; %bb.124:
	v_mul_hi_u32_u24_e32 v1, 10, v0
	v_mul_u32_u24_e32 v0, 10, v0
	v_mov_b32_e32 v22, s1
	v_sub_co_u32_e32 v0, vcc, s0, v0
	v_subb_co_u32_e32 v1, vcc, v22, v1, vcc
	v_cmp_lt_i64_e32 vcc, 4, v[0:1]
	s_and_saveexec_b64 s[0:1], vcc
	s_xor_b64 s[0:1], exec, s[0:1]
	s_cbranch_execz .LBB3_142
; %bb.125:
	v_cmp_lt_i64_e32 vcc, 6, v[0:1]
	s_and_saveexec_b64 s[4:5], vcc
	s_xor_b64 s[4:5], exec, s[4:5]
	s_cbranch_execz .LBB3_135
; %bb.126:
	;; [unrolled: 5-line block ×4, first 2 shown]
	v_mov_b32_e32 v0, 0
	global_store_dwordx2 v0, v[20:21], s[2:3]
                                        ; implicit-def: $vgpr18_vgpr19_vgpr20_vgpr21
.LBB3_129:
	s_andn2_saveexec_b64 s[8:9], s[8:9]
	s_cbranch_execz .LBB3_131
; %bb.130:
	v_mov_b32_e32 v0, 0
	global_store_dwordx2 v0, v[18:19], s[2:3]
.LBB3_131:
	s_or_b64 exec, exec, s[8:9]
                                        ; implicit-def: $vgpr14_vgpr15_vgpr16_vgpr17
.LBB3_132:
	s_andn2_saveexec_b64 s[6:7], s[6:7]
	s_cbranch_execz .LBB3_134
; %bb.133:
	v_mov_b32_e32 v0, 0
	global_store_dwordx2 v0, v[16:17], s[2:3]
.LBB3_134:
	s_or_b64 exec, exec, s[6:7]
                                        ; implicit-def: $vgpr6_vgpr7_vgpr8_vgpr9
                                        ; implicit-def: $vgpr0_vgpr1
                                        ; implicit-def: $vgpr14_vgpr15_vgpr16_vgpr17
.LBB3_135:
	s_andn2_saveexec_b64 s[4:5], s[4:5]
	s_cbranch_execz .LBB3_141
; %bb.136:
	v_cmp_lt_i64_e32 vcc, 5, v[0:1]
	s_and_saveexec_b64 s[6:7], vcc
	s_xor_b64 s[6:7], exec, s[6:7]
	s_cbranch_execz .LBB3_138
; %bb.137:
	v_mov_b32_e32 v0, 0
	global_store_dwordx2 v0, v[14:15], s[2:3]
                                        ; implicit-def: $vgpr6_vgpr7_vgpr8_vgpr9
.LBB3_138:
	s_andn2_saveexec_b64 s[6:7], s[6:7]
	s_cbranch_execz .LBB3_140
; %bb.139:
	v_mov_b32_e32 v0, 0
	global_store_dwordx2 v0, v[8:9], s[2:3]
.LBB3_140:
	s_or_b64 exec, exec, s[6:7]
.LBB3_141:
	s_or_b64 exec, exec, s[4:5]
                                        ; implicit-def: $vgpr0_vgpr1
                                        ; implicit-def: $vgpr10_vgpr11_vgpr12_vgpr13
                                        ; implicit-def: $vgpr2_vgpr3_vgpr4_vgpr5
                                        ; implicit-def: $vgpr6_vgpr7_vgpr8_vgpr9
.LBB3_142:
	s_andn2_saveexec_b64 s[0:1], s[0:1]
	s_cbranch_execz .LBB3_157
; %bb.143:
	v_cmp_lt_i64_e32 vcc, 2, v[0:1]
	s_and_saveexec_b64 s[0:1], vcc
	s_xor_b64 s[0:1], exec, s[0:1]
	s_cbranch_execz .LBB3_149
; %bb.144:
	v_cmp_lt_i64_e32 vcc, 3, v[0:1]
	s_and_saveexec_b64 s[4:5], vcc
	s_xor_b64 s[4:5], exec, s[4:5]
	s_cbranch_execz .LBB3_146
; %bb.145:
	v_mov_b32_e32 v0, 0
	global_store_dwordx2 v0, v[6:7], s[2:3]
                                        ; implicit-def: $vgpr10_vgpr11_vgpr12_vgpr13
.LBB3_146:
	s_andn2_saveexec_b64 s[4:5], s[4:5]
	s_cbranch_execz .LBB3_148
; %bb.147:
	v_mov_b32_e32 v0, 0
	global_store_dwordx2 v0, v[12:13], s[2:3]
.LBB3_148:
	s_or_b64 exec, exec, s[4:5]
                                        ; implicit-def: $vgpr0_vgpr1
                                        ; implicit-def: $vgpr10_vgpr11_vgpr12_vgpr13
                                        ; implicit-def: $vgpr2_vgpr3_vgpr4_vgpr5
.LBB3_149:
	s_andn2_saveexec_b64 s[0:1], s[0:1]
	s_cbranch_execz .LBB3_157
; %bb.150:
	v_cmp_lt_i64_e32 vcc, 1, v[0:1]
	s_and_saveexec_b64 s[0:1], vcc
	s_xor_b64 s[0:1], exec, s[0:1]
	s_cbranch_execz .LBB3_152
; %bb.151:
	v_mov_b32_e32 v0, 0
	global_store_dwordx2 v0, v[10:11], s[2:3]
                                        ; implicit-def: $vgpr2_vgpr3_vgpr4_vgpr5
                                        ; implicit-def: $vgpr0_vgpr1
.LBB3_152:
	s_andn2_saveexec_b64 s[0:1], s[0:1]
	s_cbranch_execz .LBB3_157
; %bb.153:
	v_cmp_ne_u64_e32 vcc, 1, v[0:1]
	s_and_saveexec_b64 s[0:1], vcc
	s_xor_b64 s[0:1], exec, s[0:1]
	s_cbranch_execz .LBB3_155
; %bb.154:
	v_mov_b32_e32 v0, 0
	global_store_dwordx2 v0, v[2:3], s[2:3]
                                        ; implicit-def: $vgpr2_vgpr3_vgpr4_vgpr5
.LBB3_155:
	s_andn2_saveexec_b64 s[0:1], s[0:1]
	s_cbranch_execz .LBB3_157
; %bb.156:
	v_mov_b32_e32 v0, 0
	global_store_dwordx2 v0, v[4:5], s[2:3]
.LBB3_157:
	s_endpgm
	.section	.rodata,"a",@progbits
	.p2align	6, 0x0
	.amdhsa_kernel _ZN7rocprim6detail20lookback_scan_kernelILNS0_25lookback_scan_determinismE0ELb1ENS0_19wrapped_scan_configINS_14default_configEdEEPdS6_N4RAJA9operators4plusIdddEEddNS0_19lookback_scan_stateIdLb0ELb1EEEEEvT2_T3_mT5_T4_T7_jPT6_SJ_bb
		.amdhsa_group_segment_fixed_size 10240
		.amdhsa_private_segment_fixed_size 0
		.amdhsa_kernarg_size 76
		.amdhsa_user_sgpr_count 6
		.amdhsa_user_sgpr_private_segment_buffer 1
		.amdhsa_user_sgpr_dispatch_ptr 0
		.amdhsa_user_sgpr_queue_ptr 0
		.amdhsa_user_sgpr_kernarg_segment_ptr 1
		.amdhsa_user_sgpr_dispatch_id 0
		.amdhsa_user_sgpr_flat_scratch_init 0
		.amdhsa_user_sgpr_private_segment_size 0
		.amdhsa_uses_dynamic_stack 0
		.amdhsa_system_sgpr_private_segment_wavefront_offset 0
		.amdhsa_system_sgpr_workgroup_id_x 1
		.amdhsa_system_sgpr_workgroup_id_y 0
		.amdhsa_system_sgpr_workgroup_id_z 0
		.amdhsa_system_sgpr_workgroup_info 0
		.amdhsa_system_vgpr_workitem_id 0
		.amdhsa_next_free_vgpr 65
		.amdhsa_next_free_sgpr 98
		.amdhsa_reserve_vcc 1
		.amdhsa_reserve_flat_scratch 0
		.amdhsa_float_round_mode_32 0
		.amdhsa_float_round_mode_16_64 0
		.amdhsa_float_denorm_mode_32 3
		.amdhsa_float_denorm_mode_16_64 3
		.amdhsa_dx10_clamp 1
		.amdhsa_ieee_mode 1
		.amdhsa_fp16_overflow 0
		.amdhsa_exception_fp_ieee_invalid_op 0
		.amdhsa_exception_fp_denorm_src 0
		.amdhsa_exception_fp_ieee_div_zero 0
		.amdhsa_exception_fp_ieee_overflow 0
		.amdhsa_exception_fp_ieee_underflow 0
		.amdhsa_exception_fp_ieee_inexact 0
		.amdhsa_exception_int_div_zero 0
	.end_amdhsa_kernel
	.section	.text._ZN7rocprim6detail20lookback_scan_kernelILNS0_25lookback_scan_determinismE0ELb1ENS0_19wrapped_scan_configINS_14default_configEdEEPdS6_N4RAJA9operators4plusIdddEEddNS0_19lookback_scan_stateIdLb0ELb1EEEEEvT2_T3_mT5_T4_T7_jPT6_SJ_bb,"axG",@progbits,_ZN7rocprim6detail20lookback_scan_kernelILNS0_25lookback_scan_determinismE0ELb1ENS0_19wrapped_scan_configINS_14default_configEdEEPdS6_N4RAJA9operators4plusIdddEEddNS0_19lookback_scan_stateIdLb0ELb1EEEEEvT2_T3_mT5_T4_T7_jPT6_SJ_bb,comdat
.Lfunc_end3:
	.size	_ZN7rocprim6detail20lookback_scan_kernelILNS0_25lookback_scan_determinismE0ELb1ENS0_19wrapped_scan_configINS_14default_configEdEEPdS6_N4RAJA9operators4plusIdddEEddNS0_19lookback_scan_stateIdLb0ELb1EEEEEvT2_T3_mT5_T4_T7_jPT6_SJ_bb, .Lfunc_end3-_ZN7rocprim6detail20lookback_scan_kernelILNS0_25lookback_scan_determinismE0ELb1ENS0_19wrapped_scan_configINS_14default_configEdEEPdS6_N4RAJA9operators4plusIdddEEddNS0_19lookback_scan_stateIdLb0ELb1EEEEEvT2_T3_mT5_T4_T7_jPT6_SJ_bb
                                        ; -- End function
	.set _ZN7rocprim6detail20lookback_scan_kernelILNS0_25lookback_scan_determinismE0ELb1ENS0_19wrapped_scan_configINS_14default_configEdEEPdS6_N4RAJA9operators4plusIdddEEddNS0_19lookback_scan_stateIdLb0ELb1EEEEEvT2_T3_mT5_T4_T7_jPT6_SJ_bb.num_vgpr, 56
	.set _ZN7rocprim6detail20lookback_scan_kernelILNS0_25lookback_scan_determinismE0ELb1ENS0_19wrapped_scan_configINS_14default_configEdEEPdS6_N4RAJA9operators4plusIdddEEddNS0_19lookback_scan_stateIdLb0ELb1EEEEEvT2_T3_mT5_T4_T7_jPT6_SJ_bb.num_agpr, 0
	.set _ZN7rocprim6detail20lookback_scan_kernelILNS0_25lookback_scan_determinismE0ELb1ENS0_19wrapped_scan_configINS_14default_configEdEEPdS6_N4RAJA9operators4plusIdddEEddNS0_19lookback_scan_stateIdLb0ELb1EEEEEvT2_T3_mT5_T4_T7_jPT6_SJ_bb.numbered_sgpr, 30
	.set _ZN7rocprim6detail20lookback_scan_kernelILNS0_25lookback_scan_determinismE0ELb1ENS0_19wrapped_scan_configINS_14default_configEdEEPdS6_N4RAJA9operators4plusIdddEEddNS0_19lookback_scan_stateIdLb0ELb1EEEEEvT2_T3_mT5_T4_T7_jPT6_SJ_bb.num_named_barrier, 0
	.set _ZN7rocprim6detail20lookback_scan_kernelILNS0_25lookback_scan_determinismE0ELb1ENS0_19wrapped_scan_configINS_14default_configEdEEPdS6_N4RAJA9operators4plusIdddEEddNS0_19lookback_scan_stateIdLb0ELb1EEEEEvT2_T3_mT5_T4_T7_jPT6_SJ_bb.private_seg_size, 0
	.set _ZN7rocprim6detail20lookback_scan_kernelILNS0_25lookback_scan_determinismE0ELb1ENS0_19wrapped_scan_configINS_14default_configEdEEPdS6_N4RAJA9operators4plusIdddEEddNS0_19lookback_scan_stateIdLb0ELb1EEEEEvT2_T3_mT5_T4_T7_jPT6_SJ_bb.uses_vcc, 1
	.set _ZN7rocprim6detail20lookback_scan_kernelILNS0_25lookback_scan_determinismE0ELb1ENS0_19wrapped_scan_configINS_14default_configEdEEPdS6_N4RAJA9operators4plusIdddEEddNS0_19lookback_scan_stateIdLb0ELb1EEEEEvT2_T3_mT5_T4_T7_jPT6_SJ_bb.uses_flat_scratch, 0
	.set _ZN7rocprim6detail20lookback_scan_kernelILNS0_25lookback_scan_determinismE0ELb1ENS0_19wrapped_scan_configINS_14default_configEdEEPdS6_N4RAJA9operators4plusIdddEEddNS0_19lookback_scan_stateIdLb0ELb1EEEEEvT2_T3_mT5_T4_T7_jPT6_SJ_bb.has_dyn_sized_stack, 0
	.set _ZN7rocprim6detail20lookback_scan_kernelILNS0_25lookback_scan_determinismE0ELb1ENS0_19wrapped_scan_configINS_14default_configEdEEPdS6_N4RAJA9operators4plusIdddEEddNS0_19lookback_scan_stateIdLb0ELb1EEEEEvT2_T3_mT5_T4_T7_jPT6_SJ_bb.has_recursion, 0
	.set _ZN7rocprim6detail20lookback_scan_kernelILNS0_25lookback_scan_determinismE0ELb1ENS0_19wrapped_scan_configINS_14default_configEdEEPdS6_N4RAJA9operators4plusIdddEEddNS0_19lookback_scan_stateIdLb0ELb1EEEEEvT2_T3_mT5_T4_T7_jPT6_SJ_bb.has_indirect_call, 0
	.section	.AMDGPU.csdata,"",@progbits
; Kernel info:
; codeLenInByte = 4988
; TotalNumSgprs: 34
; NumVgprs: 56
; ScratchSize: 0
; MemoryBound: 1
; FloatMode: 240
; IeeeMode: 1
; LDSByteSize: 10240 bytes/workgroup (compile time only)
; SGPRBlocks: 12
; VGPRBlocks: 16
; NumSGPRsForWavesPerEU: 102
; NumVGPRsForWavesPerEU: 65
; Occupancy: 3
; WaveLimiterHint : 1
; COMPUTE_PGM_RSRC2:SCRATCH_EN: 0
; COMPUTE_PGM_RSRC2:USER_SGPR: 6
; COMPUTE_PGM_RSRC2:TRAP_HANDLER: 0
; COMPUTE_PGM_RSRC2:TGID_X_EN: 1
; COMPUTE_PGM_RSRC2:TGID_Y_EN: 0
; COMPUTE_PGM_RSRC2:TGID_Z_EN: 0
; COMPUTE_PGM_RSRC2:TIDIG_COMP_CNT: 0
	.section	.text._ZN7rocprim6detail16transform_kernelINS0_24wrapped_transform_configINS_14default_configEdEEdPdS5_NS_8identityIdEEEEvT1_mT2_T3_,"axG",@progbits,_ZN7rocprim6detail16transform_kernelINS0_24wrapped_transform_configINS_14default_configEdEEdPdS5_NS_8identityIdEEEEvT1_mT2_T3_,comdat
	.protected	_ZN7rocprim6detail16transform_kernelINS0_24wrapped_transform_configINS_14default_configEdEEdPdS5_NS_8identityIdEEEEvT1_mT2_T3_ ; -- Begin function _ZN7rocprim6detail16transform_kernelINS0_24wrapped_transform_configINS_14default_configEdEEdPdS5_NS_8identityIdEEEEvT1_mT2_T3_
	.globl	_ZN7rocprim6detail16transform_kernelINS0_24wrapped_transform_configINS_14default_configEdEEdPdS5_NS_8identityIdEEEEvT1_mT2_T3_
	.p2align	8
	.type	_ZN7rocprim6detail16transform_kernelINS0_24wrapped_transform_configINS_14default_configEdEEdPdS5_NS_8identityIdEEEEvT1_mT2_T3_,@function
_ZN7rocprim6detail16transform_kernelINS0_24wrapped_transform_configINS_14default_configEdEEdPdS5_NS_8identityIdEEEEvT1_mT2_T3_: ; @_ZN7rocprim6detail16transform_kernelINS0_24wrapped_transform_configINS_14default_configEdEEdPdS5_NS_8identityIdEEEEvT1_mT2_T3_
; %bb.0:
	s_load_dword s7, s[4:5], 0x20
	s_load_dwordx4 s[0:3], s[4:5], 0x0
	s_lshl_b32 s8, s6, 10
	s_waitcnt lgkmcnt(0)
	s_add_i32 s7, s7, -1
	s_cmp_lg_u32 s6, s7
	s_cselect_b64 s[6:7], -1, 0
	s_sub_i32 s2, s2, s8
	v_cmp_gt_u32_e32 vcc, s2, v0
	s_or_b64 s[2:3], vcc, s[6:7]
	s_and_saveexec_b64 s[6:7], s[2:3]
	s_cbranch_execz .LBB4_2
; %bb.1:
	s_load_dwordx2 s[2:3], s[4:5], 0x10
	s_mov_b32 s9, 0
	s_lshl_b64 s[4:5], s[8:9], 3
	v_lshlrev_b32_e32 v2, 3, v0
	s_waitcnt lgkmcnt(0)
	s_add_u32 s2, s2, s4
	s_addc_u32 s3, s3, s5
	s_add_u32 s0, s0, s4
	s_addc_u32 s1, s1, s5
	global_load_dwordx2 v[0:1], v2, s[0:1]
	s_waitcnt vmcnt(0)
	global_store_dwordx2 v2, v[0:1], s[2:3]
.LBB4_2:
	s_endpgm
	.section	.rodata,"a",@progbits
	.p2align	6, 0x0
	.amdhsa_kernel _ZN7rocprim6detail16transform_kernelINS0_24wrapped_transform_configINS_14default_configEdEEdPdS5_NS_8identityIdEEEEvT1_mT2_T3_
		.amdhsa_group_segment_fixed_size 0
		.amdhsa_private_segment_fixed_size 0
		.amdhsa_kernarg_size 288
		.amdhsa_user_sgpr_count 6
		.amdhsa_user_sgpr_private_segment_buffer 1
		.amdhsa_user_sgpr_dispatch_ptr 0
		.amdhsa_user_sgpr_queue_ptr 0
		.amdhsa_user_sgpr_kernarg_segment_ptr 1
		.amdhsa_user_sgpr_dispatch_id 0
		.amdhsa_user_sgpr_flat_scratch_init 0
		.amdhsa_user_sgpr_private_segment_size 0
		.amdhsa_uses_dynamic_stack 0
		.amdhsa_system_sgpr_private_segment_wavefront_offset 0
		.amdhsa_system_sgpr_workgroup_id_x 1
		.amdhsa_system_sgpr_workgroup_id_y 0
		.amdhsa_system_sgpr_workgroup_id_z 0
		.amdhsa_system_sgpr_workgroup_info 0
		.amdhsa_system_vgpr_workitem_id 0
		.amdhsa_next_free_vgpr 3
		.amdhsa_next_free_sgpr 10
		.amdhsa_reserve_vcc 1
		.amdhsa_reserve_flat_scratch 0
		.amdhsa_float_round_mode_32 0
		.amdhsa_float_round_mode_16_64 0
		.amdhsa_float_denorm_mode_32 3
		.amdhsa_float_denorm_mode_16_64 3
		.amdhsa_dx10_clamp 1
		.amdhsa_ieee_mode 1
		.amdhsa_fp16_overflow 0
		.amdhsa_exception_fp_ieee_invalid_op 0
		.amdhsa_exception_fp_denorm_src 0
		.amdhsa_exception_fp_ieee_div_zero 0
		.amdhsa_exception_fp_ieee_overflow 0
		.amdhsa_exception_fp_ieee_underflow 0
		.amdhsa_exception_fp_ieee_inexact 0
		.amdhsa_exception_int_div_zero 0
	.end_amdhsa_kernel
	.section	.text._ZN7rocprim6detail16transform_kernelINS0_24wrapped_transform_configINS_14default_configEdEEdPdS5_NS_8identityIdEEEEvT1_mT2_T3_,"axG",@progbits,_ZN7rocprim6detail16transform_kernelINS0_24wrapped_transform_configINS_14default_configEdEEdPdS5_NS_8identityIdEEEEvT1_mT2_T3_,comdat
.Lfunc_end4:
	.size	_ZN7rocprim6detail16transform_kernelINS0_24wrapped_transform_configINS_14default_configEdEEdPdS5_NS_8identityIdEEEEvT1_mT2_T3_, .Lfunc_end4-_ZN7rocprim6detail16transform_kernelINS0_24wrapped_transform_configINS_14default_configEdEEdPdS5_NS_8identityIdEEEEvT1_mT2_T3_
                                        ; -- End function
	.set _ZN7rocprim6detail16transform_kernelINS0_24wrapped_transform_configINS_14default_configEdEEdPdS5_NS_8identityIdEEEEvT1_mT2_T3_.num_vgpr, 3
	.set _ZN7rocprim6detail16transform_kernelINS0_24wrapped_transform_configINS_14default_configEdEEdPdS5_NS_8identityIdEEEEvT1_mT2_T3_.num_agpr, 0
	.set _ZN7rocprim6detail16transform_kernelINS0_24wrapped_transform_configINS_14default_configEdEEdPdS5_NS_8identityIdEEEEvT1_mT2_T3_.numbered_sgpr, 10
	.set _ZN7rocprim6detail16transform_kernelINS0_24wrapped_transform_configINS_14default_configEdEEdPdS5_NS_8identityIdEEEEvT1_mT2_T3_.num_named_barrier, 0
	.set _ZN7rocprim6detail16transform_kernelINS0_24wrapped_transform_configINS_14default_configEdEEdPdS5_NS_8identityIdEEEEvT1_mT2_T3_.private_seg_size, 0
	.set _ZN7rocprim6detail16transform_kernelINS0_24wrapped_transform_configINS_14default_configEdEEdPdS5_NS_8identityIdEEEEvT1_mT2_T3_.uses_vcc, 1
	.set _ZN7rocprim6detail16transform_kernelINS0_24wrapped_transform_configINS_14default_configEdEEdPdS5_NS_8identityIdEEEEvT1_mT2_T3_.uses_flat_scratch, 0
	.set _ZN7rocprim6detail16transform_kernelINS0_24wrapped_transform_configINS_14default_configEdEEdPdS5_NS_8identityIdEEEEvT1_mT2_T3_.has_dyn_sized_stack, 0
	.set _ZN7rocprim6detail16transform_kernelINS0_24wrapped_transform_configINS_14default_configEdEEdPdS5_NS_8identityIdEEEEvT1_mT2_T3_.has_recursion, 0
	.set _ZN7rocprim6detail16transform_kernelINS0_24wrapped_transform_configINS_14default_configEdEEdPdS5_NS_8identityIdEEEEvT1_mT2_T3_.has_indirect_call, 0
	.section	.AMDGPU.csdata,"",@progbits
; Kernel info:
; codeLenInByte = 120
; TotalNumSgprs: 14
; NumVgprs: 3
; ScratchSize: 0
; MemoryBound: 0
; FloatMode: 240
; IeeeMode: 1
; LDSByteSize: 0 bytes/workgroup (compile time only)
; SGPRBlocks: 1
; VGPRBlocks: 0
; NumSGPRsForWavesPerEU: 14
; NumVGPRsForWavesPerEU: 3
; Occupancy: 10
; WaveLimiterHint : 0
; COMPUTE_PGM_RSRC2:SCRATCH_EN: 0
; COMPUTE_PGM_RSRC2:USER_SGPR: 6
; COMPUTE_PGM_RSRC2:TRAP_HANDLER: 0
; COMPUTE_PGM_RSRC2:TGID_X_EN: 1
; COMPUTE_PGM_RSRC2:TGID_Y_EN: 0
; COMPUTE_PGM_RSRC2:TGID_Z_EN: 0
; COMPUTE_PGM_RSRC2:TIDIG_COMP_CNT: 0
	.section	.text._ZN7rocprim6detail18single_scan_kernelILb1ENS0_19wrapped_scan_configINS_14default_configEdEEPdS5_N4RAJA9operators4plusIdddEEddEEvT1_mT4_T2_T3_,"axG",@progbits,_ZN7rocprim6detail18single_scan_kernelILb1ENS0_19wrapped_scan_configINS_14default_configEdEEPdS5_N4RAJA9operators4plusIdddEEddEEvT1_mT4_T2_T3_,comdat
	.protected	_ZN7rocprim6detail18single_scan_kernelILb1ENS0_19wrapped_scan_configINS_14default_configEdEEPdS5_N4RAJA9operators4plusIdddEEddEEvT1_mT4_T2_T3_ ; -- Begin function _ZN7rocprim6detail18single_scan_kernelILb1ENS0_19wrapped_scan_configINS_14default_configEdEEPdS5_N4RAJA9operators4plusIdddEEddEEvT1_mT4_T2_T3_
	.globl	_ZN7rocprim6detail18single_scan_kernelILb1ENS0_19wrapped_scan_configINS_14default_configEdEEPdS5_N4RAJA9operators4plusIdddEEddEEvT1_mT4_T2_T3_
	.p2align	8
	.type	_ZN7rocprim6detail18single_scan_kernelILb1ENS0_19wrapped_scan_configINS_14default_configEdEEPdS5_N4RAJA9operators4plusIdddEEddEEvT1_mT4_T2_T3_,@function
_ZN7rocprim6detail18single_scan_kernelILb1ENS0_19wrapped_scan_configINS_14default_configEdEEPdS5_N4RAJA9operators4plusIdddEEddEEvT1_mT4_T2_T3_: ; @_ZN7rocprim6detail18single_scan_kernelILb1ENS0_19wrapped_scan_configINS_14default_configEdEEPdS5_N4RAJA9operators4plusIdddEEddEEvT1_mT4_T2_T3_
; %bb.0:
	s_load_dwordx8 s[16:23], s[4:5], 0x0
	v_lshlrev_b32_e32 v29, 3, v0
	s_waitcnt lgkmcnt(0)
	s_load_dwordx2 s[24:25], s[16:17], 0x0
	v_mov_b32_e32 v1, s17
	v_add_co_u32_e32 v3, vcc, s16, v29
	v_addc_co_u32_e32 v4, vcc, 0, v1, vcc
	s_waitcnt lgkmcnt(0)
	v_mov_b32_e32 v1, s24
	v_cmp_gt_u32_e64 s[0:1], s18, v0
	v_mov_b32_e32 v2, s25
	s_and_saveexec_b64 s[2:3], s[0:1]
	s_cbranch_execz .LBB5_2
; %bb.1:
	global_load_dwordx2 v[1:2], v[3:4], off
.LBB5_2:
	s_or_b64 exec, exec, s[2:3]
	v_or_b32_e32 v5, 0x80, v0
	v_cmp_gt_u32_e64 s[2:3], s18, v5
	v_mov_b32_e32 v5, s24
	v_mov_b32_e32 v6, s25
	s_and_saveexec_b64 s[4:5], s[2:3]
	s_cbranch_execz .LBB5_4
; %bb.3:
	global_load_dwordx2 v[5:6], v[3:4], off offset:1024
.LBB5_4:
	s_or_b64 exec, exec, s[4:5]
	v_or_b32_e32 v7, 0x100, v0
	v_cmp_gt_u32_e64 s[4:5], s18, v7
	v_mov_b32_e32 v7, s24
	v_mov_b32_e32 v8, s25
	s_and_saveexec_b64 s[6:7], s[4:5]
	s_cbranch_execz .LBB5_6
; %bb.5:
	global_load_dwordx2 v[7:8], v[3:4], off offset:2048
.LBB5_6:
	;; [unrolled: 10-line block ×3, first 2 shown]
	s_or_b64 exec, exec, s[8:9]
	v_or_b32_e32 v11, 0x200, v0
	v_cmp_gt_u32_e64 s[8:9], s18, v11
	v_mov_b32_e32 v11, s24
	v_mov_b32_e32 v12, s25
	s_and_saveexec_b64 s[10:11], s[8:9]
	s_cbranch_execz .LBB5_10
; %bb.9:
	v_add_co_u32_e32 v11, vcc, 0x1000, v3
	v_addc_co_u32_e32 v12, vcc, 0, v4, vcc
	global_load_dwordx2 v[11:12], v[11:12], off
.LBB5_10:
	s_or_b64 exec, exec, s[10:11]
	v_or_b32_e32 v13, 0x280, v0
	v_cmp_gt_u32_e64 s[10:11], s18, v13
	v_mov_b32_e32 v13, s24
	v_mov_b32_e32 v14, s25
	s_and_saveexec_b64 s[12:13], s[10:11]
	s_cbranch_execz .LBB5_12
; %bb.11:
	v_add_co_u32_e32 v13, vcc, 0x1000, v3
	v_addc_co_u32_e32 v14, vcc, 0, v4, vcc
	global_load_dwordx2 v[13:14], v[13:14], off offset:1024
.LBB5_12:
	s_or_b64 exec, exec, s[12:13]
	v_or_b32_e32 v15, 0x300, v0
	v_cmp_gt_u32_e64 s[12:13], s18, v15
	v_mov_b32_e32 v15, s24
	v_mov_b32_e32 v16, s25
	s_and_saveexec_b64 s[14:15], s[12:13]
	s_cbranch_execz .LBB5_14
; %bb.13:
	v_add_co_u32_e32 v15, vcc, 0x1000, v3
	v_addc_co_u32_e32 v16, vcc, 0, v4, vcc
	global_load_dwordx2 v[15:16], v[15:16], off offset:2048
.LBB5_14:
	;; [unrolled: 12-line block ×3, first 2 shown]
	s_or_b64 exec, exec, s[16:17]
	v_or_b32_e32 v19, 0x400, v0
	v_cmp_gt_u32_e64 s[16:17], s18, v19
	v_mov_b32_e32 v19, s24
	v_mov_b32_e32 v20, s25
	s_and_saveexec_b64 s[26:27], s[16:17]
	s_cbranch_execz .LBB5_18
; %bb.17:
	v_add_co_u32_e32 v19, vcc, 0x2000, v3
	v_addc_co_u32_e32 v20, vcc, 0, v4, vcc
	global_load_dwordx2 v[19:20], v[19:20], off
.LBB5_18:
	s_or_b64 exec, exec, s[26:27]
	v_or_b32_e32 v21, 0x480, v0
	v_cmp_gt_u32_e64 s[18:19], s18, v21
	v_mov_b32_e32 v21, s24
	v_mov_b32_e32 v22, s25
	s_and_saveexec_b64 s[24:25], s[18:19]
	s_cbranch_execz .LBB5_20
; %bb.19:
	v_add_co_u32_e32 v3, vcc, 0x2000, v3
	v_addc_co_u32_e32 v4, vcc, 0, v4, vcc
	global_load_dwordx2 v[21:22], v[3:4], off offset:1024
.LBB5_20:
	s_or_b64 exec, exec, s[24:25]
	s_movk_i32 s24, 0x48
	s_waitcnt vmcnt(0)
	ds_write2st64_b64 v29, v[1:2], v[5:6] offset1:2
	ds_write2st64_b64 v29, v[7:8], v[9:10] offset0:4 offset1:6
	ds_write2st64_b64 v29, v[11:12], v[13:14] offset0:8 offset1:10
	ds_write2st64_b64 v29, v[15:16], v[17:18] offset0:12 offset1:14
	ds_write2st64_b64 v29, v[19:20], v[21:22] offset0:16 offset1:18
	v_mad_u32_u24 v19, v0, s24, v29
	s_waitcnt lgkmcnt(0)
	s_barrier
	ds_read_b128 v[5:8], v19
	ds_read_b128 v[1:4], v19 offset:16
	v_cmp_gt_u32_e32 vcc, 64, v0
	s_waitcnt lgkmcnt(1)
	v_add_f64 v[9:10], v[5:6], v[7:8]
	s_waitcnt lgkmcnt(0)
	v_add_f64 v[9:10], v[9:10], v[1:2]
	v_add_f64 v[17:18], v[9:10], v[3:4]
	ds_read_b128 v[13:16], v19 offset:32
	ds_read_b128 v[9:12], v19 offset:48
	s_waitcnt lgkmcnt(1)
	v_add_f64 v[17:18], v[17:18], v[13:14]
	v_add_f64 v[17:18], v[17:18], v[15:16]
	s_waitcnt lgkmcnt(0)
	v_add_f64 v[17:18], v[17:18], v[9:10]
	v_add_f64 v[21:22], v[17:18], v[11:12]
	ds_read_b128 v[17:20], v19 offset:64
	s_waitcnt lgkmcnt(0)
	s_barrier
	v_add_f64 v[21:22], v[21:22], v[17:18]
	v_add_f64 v[23:24], v[21:22], v[19:20]
	v_lshrrev_b32_e32 v19, 2, v0
	v_and_b32_e32 v19, 24, v19
	v_add_u32_e32 v19, v29, v19
	ds_write_b64 v19, v[23:24]
	s_waitcnt lgkmcnt(0)
	s_barrier
	s_and_saveexec_b64 s[24:25], vcc
	s_cbranch_execz .LBB5_32
; %bb.21:
	v_lshrrev_b32_e32 v19, 1, v0
	v_and_b32_e32 v19, 56, v19
	v_lshlrev_b32_e32 v20, 4, v0
	v_add_u32_e32 v30, v19, v20
	ds_read2_b64 v[19:22], v30 offset1:1
	v_mbcnt_lo_u32_b32 v27, -1, 0
	v_mbcnt_hi_u32_b32 v31, -1, v27
	v_and_b32_e32 v32, 15, v31
	v_cmp_ne_u32_e32 vcc, 0, v32
	s_waitcnt lgkmcnt(0)
	v_add_f64 v[25:26], v[19:20], v[21:22]
	s_nop 1
	v_mov_b32_dpp v27, v25 row_shr:1 row_mask:0xf bank_mask:0xf
	v_mov_b32_dpp v28, v26 row_shr:1 row_mask:0xf bank_mask:0xf
	s_and_saveexec_b64 s[26:27], vcc
; %bb.22:
	v_add_f64 v[25:26], v[25:26], v[27:28]
; %bb.23:
	s_or_b64 exec, exec, s[26:27]
	s_nop 0
	v_mov_b32_dpp v27, v25 row_shr:2 row_mask:0xf bank_mask:0xf
	v_mov_b32_dpp v28, v26 row_shr:2 row_mask:0xf bank_mask:0xf
	v_cmp_lt_u32_e32 vcc, 1, v32
	s_and_saveexec_b64 s[26:27], vcc
; %bb.24:
	v_add_f64 v[25:26], v[25:26], v[27:28]
; %bb.25:
	s_or_b64 exec, exec, s[26:27]
	s_nop 0
	v_mov_b32_dpp v27, v25 row_shr:4 row_mask:0xf bank_mask:0xf
	v_mov_b32_dpp v28, v26 row_shr:4 row_mask:0xf bank_mask:0xf
	v_cmp_lt_u32_e32 vcc, 3, v32
	;; [unrolled: 9-line block ×3, first 2 shown]
	s_and_saveexec_b64 s[26:27], vcc
; %bb.28:
	v_add_f64 v[25:26], v[25:26], v[27:28]
; %bb.29:
	s_or_b64 exec, exec, s[26:27]
	v_and_b32_e32 v32, 16, v31
	v_mov_b32_dpp v27, v25 row_bcast:15 row_mask:0xf bank_mask:0xf
	v_mov_b32_dpp v28, v26 row_bcast:15 row_mask:0xf bank_mask:0xf
	v_cmp_ne_u32_e32 vcc, 0, v32
	s_and_saveexec_b64 s[26:27], vcc
; %bb.30:
	v_add_f64 v[25:26], v[25:26], v[27:28]
; %bb.31:
	s_or_b64 exec, exec, s[26:27]
	s_nop 0
	v_mov_b32_dpp v27, v25 row_bcast:31 row_mask:0xf bank_mask:0xf
	v_mov_b32_dpp v28, v26 row_bcast:31 row_mask:0xf bank_mask:0xf
	v_add_f64 v[27:28], v[25:26], v[27:28]
	v_add_u32_e32 v32, -1, v31
	v_and_b32_e32 v33, 64, v31
	v_cmp_lt_i32_e32 vcc, v32, v33
	v_cndmask_b32_e32 v32, v32, v31, vcc
	v_cmp_lt_u32_e32 vcc, 31, v31
	v_cndmask_b32_e32 v26, v26, v28, vcc
	v_cndmask_b32_e32 v25, v25, v27, vcc
	v_lshlrev_b32_e32 v27, 2, v32
	ds_bpermute_b32 v25, v27, v25
	ds_bpermute_b32 v26, v27, v26
	v_cmp_eq_u32_e32 vcc, 0, v0
	s_waitcnt lgkmcnt(0)
	v_add_f64 v[19:20], v[19:20], v[25:26]
	v_cndmask_b32_e32 v20, v20, v24, vcc
	v_cndmask_b32_e32 v19, v19, v23, vcc
	v_add_f64 v[21:22], v[21:22], v[19:20]
	ds_write2_b64 v30, v[19:20], v[21:22] offset1:1
.LBB5_32:
	s_or_b64 exec, exec, s[24:25]
	v_mov_b32_e32 v19, s20
	v_mul_u32_u24_e32 v23, 0x48, v0
	v_cmp_ne_u32_e32 vcc, 0, v0
	v_mov_b32_e32 v20, s21
	s_waitcnt lgkmcnt(0)
	s_barrier
	s_and_saveexec_b64 s[24:25], vcc
	s_cbranch_execz .LBB5_34
; %bb.33:
	v_add_u32_e32 v0, -1, v0
	v_lshrrev_b32_e32 v19, 2, v0
	v_and_b32_e32 v19, 0x3ffffff8, v19
	v_lshl_add_u32 v0, v0, 3, v19
	ds_read_b64 v[19:20], v0
	s_waitcnt lgkmcnt(0)
	v_add_f64 v[19:20], s[20:21], v[19:20]
.LBB5_34:
	s_or_b64 exec, exec, s[24:25]
	v_add_f64 v[21:22], v[5:6], v[19:20]
	s_barrier
	v_add_f64 v[5:6], v[7:8], v[21:22]
	v_add_f64 v[7:8], v[1:2], v[5:6]
	;; [unrolled: 1-line block ×3, first 2 shown]
	v_add_u32_e32 v4, v29, v23
	v_add_f64 v[2:3], v[13:14], v[0:1]
	v_add_f64 v[13:14], v[15:16], v[2:3]
	;; [unrolled: 1-line block ×5, first 2 shown]
	v_add_co_u32_e32 v18, vcc, s22, v29
	ds_write_b128 v4, v[19:22]
	ds_write_b128 v4, v[5:8] offset:16
	ds_write_b128 v4, v[0:3] offset:32
	ds_write_b128 v4, v[13:16] offset:48
	ds_write_b128 v4, v[9:12] offset:64
	s_waitcnt lgkmcnt(0)
	s_barrier
	ds_read2st64_b64 v[12:15], v29 offset0:2 offset1:4
	ds_read2st64_b64 v[8:11], v29 offset0:6 offset1:8
	ds_read2st64_b64 v[4:7], v29 offset0:10 offset1:12
	ds_read2st64_b64 v[0:3], v29 offset0:14 offset1:16
	ds_read_b64 v[16:17], v29 offset:9216
	v_mov_b32_e32 v19, s23
	v_addc_co_u32_e32 v19, vcc, 0, v19, vcc
	s_and_saveexec_b64 s[20:21], s[0:1]
	s_cbranch_execnz .LBB5_45
; %bb.35:
	s_or_b64 exec, exec, s[20:21]
	s_and_saveexec_b64 s[0:1], s[2:3]
	s_cbranch_execnz .LBB5_46
.LBB5_36:
	s_or_b64 exec, exec, s[0:1]
	s_and_saveexec_b64 s[0:1], s[4:5]
	s_cbranch_execnz .LBB5_47
.LBB5_37:
	s_or_b64 exec, exec, s[0:1]
	s_and_saveexec_b64 s[0:1], s[6:7]
	s_cbranch_execnz .LBB5_48
.LBB5_38:
	s_or_b64 exec, exec, s[0:1]
	s_and_saveexec_b64 s[0:1], s[8:9]
	s_cbranch_execnz .LBB5_49
.LBB5_39:
	s_or_b64 exec, exec, s[0:1]
	s_and_saveexec_b64 s[0:1], s[10:11]
	s_cbranch_execnz .LBB5_50
.LBB5_40:
	s_or_b64 exec, exec, s[0:1]
	s_and_saveexec_b64 s[0:1], s[12:13]
	s_cbranch_execnz .LBB5_51
.LBB5_41:
	s_or_b64 exec, exec, s[0:1]
	s_and_saveexec_b64 s[0:1], s[14:15]
	s_cbranch_execnz .LBB5_52
.LBB5_42:
	s_or_b64 exec, exec, s[0:1]
	s_and_saveexec_b64 s[0:1], s[16:17]
	s_cbranch_execnz .LBB5_53
.LBB5_43:
	s_or_b64 exec, exec, s[0:1]
	s_and_saveexec_b64 s[0:1], s[18:19]
	s_cbranch_execnz .LBB5_54
.LBB5_44:
	s_endpgm
.LBB5_45:
	ds_read_b64 v[20:21], v29
	s_waitcnt lgkmcnt(0)
	global_store_dwordx2 v[18:19], v[20:21], off
	s_or_b64 exec, exec, s[20:21]
	s_and_saveexec_b64 s[0:1], s[2:3]
	s_cbranch_execz .LBB5_36
.LBB5_46:
	s_waitcnt lgkmcnt(4)
	global_store_dwordx2 v[18:19], v[12:13], off offset:1024
	s_or_b64 exec, exec, s[0:1]
	s_and_saveexec_b64 s[0:1], s[4:5]
	s_cbranch_execz .LBB5_37
.LBB5_47:
	s_waitcnt lgkmcnt(4)
	global_store_dwordx2 v[18:19], v[14:15], off offset:2048
	s_or_b64 exec, exec, s[0:1]
	s_and_saveexec_b64 s[0:1], s[6:7]
	s_cbranch_execz .LBB5_38
.LBB5_48:
	s_waitcnt lgkmcnt(3)
	global_store_dwordx2 v[18:19], v[8:9], off offset:3072
	s_or_b64 exec, exec, s[0:1]
	s_and_saveexec_b64 s[0:1], s[8:9]
	s_cbranch_execz .LBB5_39
.LBB5_49:
	s_waitcnt lgkmcnt(3)
	v_add_co_u32_e32 v8, vcc, 0x1000, v18
	v_addc_co_u32_e32 v9, vcc, 0, v19, vcc
	global_store_dwordx2 v[8:9], v[10:11], off
	s_or_b64 exec, exec, s[0:1]
	s_and_saveexec_b64 s[0:1], s[10:11]
	s_cbranch_execz .LBB5_40
.LBB5_50:
	s_waitcnt lgkmcnt(3)
	v_add_co_u32_e32 v8, vcc, 0x1000, v18
	v_addc_co_u32_e32 v9, vcc, 0, v19, vcc
	s_waitcnt lgkmcnt(2)
	global_store_dwordx2 v[8:9], v[4:5], off offset:1024
	s_or_b64 exec, exec, s[0:1]
	s_and_saveexec_b64 s[0:1], s[12:13]
	s_cbranch_execz .LBB5_41
.LBB5_51:
	s_waitcnt lgkmcnt(2)
	v_add_co_u32_e32 v4, vcc, 0x1000, v18
	v_addc_co_u32_e32 v5, vcc, 0, v19, vcc
	global_store_dwordx2 v[4:5], v[6:7], off offset:2048
	s_or_b64 exec, exec, s[0:1]
	s_and_saveexec_b64 s[0:1], s[14:15]
	s_cbranch_execz .LBB5_42
.LBB5_52:
	s_waitcnt lgkmcnt(2)
	v_add_co_u32_e32 v4, vcc, 0x1000, v18
	v_addc_co_u32_e32 v5, vcc, 0, v19, vcc
	s_waitcnt lgkmcnt(1)
	global_store_dwordx2 v[4:5], v[0:1], off offset:3072
	s_or_b64 exec, exec, s[0:1]
	s_and_saveexec_b64 s[0:1], s[16:17]
	s_cbranch_execz .LBB5_43
.LBB5_53:
	s_waitcnt lgkmcnt(1)
	v_add_co_u32_e32 v0, vcc, 0x2000, v18
	v_addc_co_u32_e32 v1, vcc, 0, v19, vcc
	global_store_dwordx2 v[0:1], v[2:3], off
	s_or_b64 exec, exec, s[0:1]
	s_and_saveexec_b64 s[0:1], s[18:19]
	s_cbranch_execz .LBB5_44
.LBB5_54:
	s_waitcnt lgkmcnt(1)
	v_add_co_u32_e32 v0, vcc, 0x2000, v18
	v_addc_co_u32_e32 v1, vcc, 0, v19, vcc
	s_waitcnt lgkmcnt(0)
	global_store_dwordx2 v[0:1], v[16:17], off offset:1024
	s_endpgm
	.section	.rodata,"a",@progbits
	.p2align	6, 0x0
	.amdhsa_kernel _ZN7rocprim6detail18single_scan_kernelILb1ENS0_19wrapped_scan_configINS_14default_configEdEEPdS5_N4RAJA9operators4plusIdddEEddEEvT1_mT4_T2_T3_
		.amdhsa_group_segment_fixed_size 10240
		.amdhsa_private_segment_fixed_size 0
		.amdhsa_kernarg_size 36
		.amdhsa_user_sgpr_count 6
		.amdhsa_user_sgpr_private_segment_buffer 1
		.amdhsa_user_sgpr_dispatch_ptr 0
		.amdhsa_user_sgpr_queue_ptr 0
		.amdhsa_user_sgpr_kernarg_segment_ptr 1
		.amdhsa_user_sgpr_dispatch_id 0
		.amdhsa_user_sgpr_flat_scratch_init 0
		.amdhsa_user_sgpr_private_segment_size 0
		.amdhsa_uses_dynamic_stack 0
		.amdhsa_system_sgpr_private_segment_wavefront_offset 0
		.amdhsa_system_sgpr_workgroup_id_x 1
		.amdhsa_system_sgpr_workgroup_id_y 0
		.amdhsa_system_sgpr_workgroup_id_z 0
		.amdhsa_system_sgpr_workgroup_info 0
		.amdhsa_system_vgpr_workitem_id 0
		.amdhsa_next_free_vgpr 65
		.amdhsa_next_free_sgpr 98
		.amdhsa_reserve_vcc 1
		.amdhsa_reserve_flat_scratch 0
		.amdhsa_float_round_mode_32 0
		.amdhsa_float_round_mode_16_64 0
		.amdhsa_float_denorm_mode_32 3
		.amdhsa_float_denorm_mode_16_64 3
		.amdhsa_dx10_clamp 1
		.amdhsa_ieee_mode 1
		.amdhsa_fp16_overflow 0
		.amdhsa_exception_fp_ieee_invalid_op 0
		.amdhsa_exception_fp_denorm_src 0
		.amdhsa_exception_fp_ieee_div_zero 0
		.amdhsa_exception_fp_ieee_overflow 0
		.amdhsa_exception_fp_ieee_underflow 0
		.amdhsa_exception_fp_ieee_inexact 0
		.amdhsa_exception_int_div_zero 0
	.end_amdhsa_kernel
	.section	.text._ZN7rocprim6detail18single_scan_kernelILb1ENS0_19wrapped_scan_configINS_14default_configEdEEPdS5_N4RAJA9operators4plusIdddEEddEEvT1_mT4_T2_T3_,"axG",@progbits,_ZN7rocprim6detail18single_scan_kernelILb1ENS0_19wrapped_scan_configINS_14default_configEdEEPdS5_N4RAJA9operators4plusIdddEEddEEvT1_mT4_T2_T3_,comdat
.Lfunc_end5:
	.size	_ZN7rocprim6detail18single_scan_kernelILb1ENS0_19wrapped_scan_configINS_14default_configEdEEPdS5_N4RAJA9operators4plusIdddEEddEEvT1_mT4_T2_T3_, .Lfunc_end5-_ZN7rocprim6detail18single_scan_kernelILb1ENS0_19wrapped_scan_configINS_14default_configEdEEPdS5_N4RAJA9operators4plusIdddEEddEEvT1_mT4_T2_T3_
                                        ; -- End function
	.set _ZN7rocprim6detail18single_scan_kernelILb1ENS0_19wrapped_scan_configINS_14default_configEdEEPdS5_N4RAJA9operators4plusIdddEEddEEvT1_mT4_T2_T3_.num_vgpr, 34
	.set _ZN7rocprim6detail18single_scan_kernelILb1ENS0_19wrapped_scan_configINS_14default_configEdEEPdS5_N4RAJA9operators4plusIdddEEddEEvT1_mT4_T2_T3_.num_agpr, 0
	.set _ZN7rocprim6detail18single_scan_kernelILb1ENS0_19wrapped_scan_configINS_14default_configEdEEPdS5_N4RAJA9operators4plusIdddEEddEEvT1_mT4_T2_T3_.numbered_sgpr, 28
	.set _ZN7rocprim6detail18single_scan_kernelILb1ENS0_19wrapped_scan_configINS_14default_configEdEEPdS5_N4RAJA9operators4plusIdddEEddEEvT1_mT4_T2_T3_.num_named_barrier, 0
	.set _ZN7rocprim6detail18single_scan_kernelILb1ENS0_19wrapped_scan_configINS_14default_configEdEEPdS5_N4RAJA9operators4plusIdddEEddEEvT1_mT4_T2_T3_.private_seg_size, 0
	.set _ZN7rocprim6detail18single_scan_kernelILb1ENS0_19wrapped_scan_configINS_14default_configEdEEPdS5_N4RAJA9operators4plusIdddEEddEEvT1_mT4_T2_T3_.uses_vcc, 1
	.set _ZN7rocprim6detail18single_scan_kernelILb1ENS0_19wrapped_scan_configINS_14default_configEdEEPdS5_N4RAJA9operators4plusIdddEEddEEvT1_mT4_T2_T3_.uses_flat_scratch, 0
	.set _ZN7rocprim6detail18single_scan_kernelILb1ENS0_19wrapped_scan_configINS_14default_configEdEEPdS5_N4RAJA9operators4plusIdddEEddEEvT1_mT4_T2_T3_.has_dyn_sized_stack, 0
	.set _ZN7rocprim6detail18single_scan_kernelILb1ENS0_19wrapped_scan_configINS_14default_configEdEEPdS5_N4RAJA9operators4plusIdddEEddEEvT1_mT4_T2_T3_.has_recursion, 0
	.set _ZN7rocprim6detail18single_scan_kernelILb1ENS0_19wrapped_scan_configINS_14default_configEdEEPdS5_N4RAJA9operators4plusIdddEEddEEvT1_mT4_T2_T3_.has_indirect_call, 0
	.section	.AMDGPU.csdata,"",@progbits
; Kernel info:
; codeLenInByte = 1868
; TotalNumSgprs: 32
; NumVgprs: 34
; ScratchSize: 0
; MemoryBound: 0
; FloatMode: 240
; IeeeMode: 1
; LDSByteSize: 10240 bytes/workgroup (compile time only)
; SGPRBlocks: 12
; VGPRBlocks: 16
; NumSGPRsForWavesPerEU: 102
; NumVGPRsForWavesPerEU: 65
; Occupancy: 3
; WaveLimiterHint : 0
; COMPUTE_PGM_RSRC2:SCRATCH_EN: 0
; COMPUTE_PGM_RSRC2:USER_SGPR: 6
; COMPUTE_PGM_RSRC2:TRAP_HANDLER: 0
; COMPUTE_PGM_RSRC2:TGID_X_EN: 1
; COMPUTE_PGM_RSRC2:TGID_Y_EN: 0
; COMPUTE_PGM_RSRC2:TGID_Z_EN: 0
; COMPUTE_PGM_RSRC2:TIDIG_COMP_CNT: 0
	.section	.text._ZN8rajaperf9algorithm11scan_customILm256ELm15EEEvPdS2_S2_S2_Pjl,"axG",@progbits,_ZN8rajaperf9algorithm11scan_customILm256ELm15EEEvPdS2_S2_S2_Pjl,comdat
	.protected	_ZN8rajaperf9algorithm11scan_customILm256ELm15EEEvPdS2_S2_S2_Pjl ; -- Begin function _ZN8rajaperf9algorithm11scan_customILm256ELm15EEEvPdS2_S2_S2_Pjl
	.globl	_ZN8rajaperf9algorithm11scan_customILm256ELm15EEEvPdS2_S2_S2_Pjl
	.p2align	8
	.type	_ZN8rajaperf9algorithm11scan_customILm256ELm15EEEvPdS2_S2_S2_Pjl,@function
_ZN8rajaperf9algorithm11scan_customILm256ELm15EEEvPdS2_S2_S2_Pjl: ; @_ZN8rajaperf9algorithm11scan_customILm256ELm15EEEvPdS2_S2_S2_Pjl
; %bb.0:
	s_load_dwordx8 s[40:47], s[4:5], 0x0
	s_load_dwordx4 s[48:51], s[4:5], 0x20
	s_mul_hi_i32 s0, s6, 0xf00
	s_mul_i32 s1, s6, 0xf00
	v_or_b32_e32 v29, s1, v0
	v_mov_b32_e32 v30, s0
	s_waitcnt lgkmcnt(0)
	v_cmp_gt_i64_e64 s[0:1], s[50:51], v[29:30]
	v_mov_b32_e32 v1, 0
	v_mov_b32_e32 v3, 0
	;; [unrolled: 1-line block ×4, first 2 shown]
	s_and_saveexec_b64 s[2:3], s[0:1]
	s_cbranch_execz .LBB6_2
; %bb.1:
	v_lshlrev_b64 v[3:4], 3, v[29:30]
	v_mov_b32_e32 v5, s41
	v_add_co_u32_e32 v3, vcc, s40, v3
	v_addc_co_u32_e32 v4, vcc, v5, v4, vcc
	global_load_dwordx2 v[3:4], v[3:4], off
.LBB6_2:
	s_or_b64 exec, exec, s[2:3]
	v_add_co_u32_e32 v5, vcc, 0x100, v29
	v_addc_co_u32_e32 v6, vcc, 0, v30, vcc
	v_cmp_gt_i64_e64 s[2:3], s[50:51], v[5:6]
	s_and_saveexec_b64 s[8:9], s[2:3]
	s_cbranch_execz .LBB6_4
; %bb.3:
	v_lshlrev_b64 v[1:2], 3, v[29:30]
	v_mov_b32_e32 v5, s41
	v_add_co_u32_e32 v1, vcc, s40, v1
	v_addc_co_u32_e32 v2, vcc, v5, v2, vcc
	global_load_dwordx2 v[1:2], v[1:2], off offset:2048
.LBB6_4:
	s_or_b64 exec, exec, s[8:9]
	v_add_co_u32_e32 v31, vcc, 0x200, v29
	v_addc_co_u32_e32 v32, vcc, 0, v30, vcc
	v_cmp_gt_i64_e64 s[36:37], s[50:51], v[31:32]
	v_mov_b32_e32 v5, 0
	v_mov_b32_e32 v7, 0
	v_mov_b32_e32 v6, 0
	v_mov_b32_e32 v8, 0
	s_and_saveexec_b64 s[8:9], s[36:37]
	s_cbranch_execz .LBB6_6
; %bb.5:
	v_lshlrev_b64 v[7:8], 3, v[31:32]
	v_mov_b32_e32 v9, s41
	v_add_co_u32_e32 v7, vcc, s40, v7
	v_addc_co_u32_e32 v8, vcc, v9, v8, vcc
	global_load_dwordx2 v[7:8], v[7:8], off
.LBB6_6:
	s_or_b64 exec, exec, s[8:9]
	v_add_co_u32_e32 v33, vcc, 0x300, v29
	v_addc_co_u32_e32 v34, vcc, 0, v30, vcc
	v_cmp_gt_i64_e64 s[30:31], s[50:51], v[33:34]
	s_and_saveexec_b64 s[8:9], s[30:31]
	s_cbranch_execz .LBB6_8
; %bb.7:
	v_lshlrev_b64 v[5:6], 3, v[33:34]
	v_mov_b32_e32 v9, s41
	v_add_co_u32_e32 v5, vcc, s40, v5
	v_addc_co_u32_e32 v6, vcc, v9, v6, vcc
	global_load_dwordx2 v[5:6], v[5:6], off
.LBB6_8:
	s_or_b64 exec, exec, s[8:9]
	v_add_co_u32_e32 v35, vcc, 0x400, v29
	v_addc_co_u32_e32 v36, vcc, 0, v30, vcc
	v_cmp_gt_i64_e64 s[8:9], s[50:51], v[35:36]
	v_mov_b32_e32 v9, 0
	v_mov_b32_e32 v11, 0
	v_mov_b32_e32 v10, 0
	v_mov_b32_e32 v12, 0
	s_and_saveexec_b64 s[10:11], s[8:9]
	s_cbranch_execz .LBB6_10
; %bb.9:
	v_lshlrev_b64 v[11:12], 3, v[35:36]
	v_mov_b32_e32 v13, s41
	v_add_co_u32_e32 v11, vcc, s40, v11
	v_addc_co_u32_e32 v12, vcc, v13, v12, vcc
	global_load_dwordx2 v[11:12], v[11:12], off
.LBB6_10:
	s_or_b64 exec, exec, s[10:11]
	v_add_co_u32_e32 v37, vcc, 0x500, v29
	v_addc_co_u32_e32 v38, vcc, 0, v30, vcc
	v_cmp_gt_i64_e64 s[10:11], s[50:51], v[37:38]
	s_and_saveexec_b64 s[12:13], s[10:11]
	s_cbranch_execz .LBB6_12
; %bb.11:
	v_lshlrev_b64 v[9:10], 3, v[37:38]
	v_mov_b32_e32 v13, s41
	v_add_co_u32_e32 v9, vcc, s40, v9
	v_addc_co_u32_e32 v10, vcc, v13, v10, vcc
	global_load_dwordx2 v[9:10], v[9:10], off
.LBB6_12:
	;; [unrolled: 30-line block ×6, first 2 shown]
	s_or_b64 exec, exec, s[28:29]
	v_add_co_u32_e32 v55, vcc, 0xe00, v29
	v_addc_co_u32_e32 v56, vcc, 0, v30, vcc
	v_cmp_gt_i64_e64 s[28:29], s[50:51], v[55:56]
	v_mov_b32_e32 v57, 0
	v_mov_b32_e32 v58, 0
	s_and_saveexec_b64 s[34:35], s[28:29]
	s_cbranch_execz .LBB6_30
; %bb.29:
	v_lshlrev_b64 v[57:58], 3, v[55:56]
	v_mov_b32_e32 v59, s41
	v_add_co_u32_e32 v57, vcc, s40, v57
	v_addc_co_u32_e32 v58, vcc, v59, v58, vcc
	global_load_dwordx2 v[57:58], v[57:58], off
.LBB6_30:
	s_or_b64 exec, exec, s[34:35]
	s_load_dword s33, s[4:5], 0x30
	v_lshlrev_b32_e32 v65, 3, v0
	s_movk_i32 s4, 0x70
	s_waitcnt vmcnt(0)
	ds_write2st64_b64 v65, v[3:4], v[1:2] offset1:4
	ds_write2st64_b64 v65, v[7:8], v[5:6] offset0:8 offset1:12
	ds_write2st64_b64 v65, v[11:12], v[9:10] offset0:16 offset1:20
	;; [unrolled: 1-line block ×6, first 2 shown]
	ds_write_b64 v65, v[57:58] offset:28672
	v_mad_u32_u24 v57, v0, s4, v65
	s_waitcnt lgkmcnt(0)
	s_barrier
	ds_read2_b64 v[9:12], v57 offset1:1
	ds_read2_b64 v[13:16], v57 offset0:2 offset1:3
	ds_read2_b64 v[25:28], v57 offset0:4 offset1:5
	;; [unrolled: 1-line block ×5, first 2 shown]
	v_mbcnt_lo_u32_b32 v61, -1, 0
	s_waitcnt lgkmcnt(5)
	v_add_f64 v[1:2], v[9:10], v[11:12]
	v_mbcnt_hi_u32_b32 v69, -1, v61
	v_and_b32_e32 v63, 15, v69
	v_cmp_ne_u32_e32 vcc, 0, v63
	s_waitcnt lgkmcnt(4)
	v_add_f64 v[1:2], v[1:2], v[13:14]
	v_add_f64 v[1:2], v[1:2], v[15:16]
	s_waitcnt lgkmcnt(3)
	v_add_f64 v[1:2], v[1:2], v[25:26]
	v_add_f64 v[1:2], v[1:2], v[27:28]
	;; [unrolled: 3-line block ×5, first 2 shown]
	ds_read2_b64 v[1:4], v57 offset0:12 offset1:13
	ds_read_b64 v[57:58], v57 offset:112
	s_waitcnt lgkmcnt(0)
	s_barrier
	v_add_f64 v[59:60], v[59:60], v[1:2]
	v_add_f64 v[59:60], v[59:60], v[3:4]
	;; [unrolled: 1-line block ×3, first 2 shown]
	s_nop 1
	v_mov_b32_dpp v61, v59 row_shr:1 row_mask:0xf bank_mask:0xf
	v_mov_b32_dpp v62, v60 row_shr:1 row_mask:0xf bank_mask:0xf
	s_and_saveexec_b64 s[4:5], vcc
	s_xor_b64 s[4:5], exec, s[4:5]
; %bb.31:
	v_add_f64 v[59:60], v[59:60], v[61:62]
; %bb.32:
	s_or_b64 exec, exec, s[4:5]
	s_nop 0
	v_mov_b32_dpp v61, v59 row_shr:2 row_mask:0xf bank_mask:0xf
	v_mov_b32_dpp v62, v60 row_shr:2 row_mask:0xf bank_mask:0xf
	v_cmp_lt_u32_e32 vcc, 1, v63
	s_and_saveexec_b64 s[4:5], vcc
; %bb.33:
	v_add_f64 v[59:60], v[59:60], v[61:62]
; %bb.34:
	s_or_b64 exec, exec, s[4:5]
	s_nop 0
	v_mov_b32_dpp v61, v59 row_shr:4 row_mask:0xf bank_mask:0xf
	v_mov_b32_dpp v62, v60 row_shr:4 row_mask:0xf bank_mask:0xf
	v_cmp_lt_u32_e32 vcc, 3, v63
	s_and_saveexec_b64 s[4:5], vcc
	;; [unrolled: 9-line block ×3, first 2 shown]
; %bb.37:
	v_add_f64 v[59:60], v[59:60], v[61:62]
; %bb.38:
	s_or_b64 exec, exec, s[4:5]
	v_and_b32_e32 v63, 16, v69
	v_mov_b32_dpp v61, v59 row_bcast:15 row_mask:0xf bank_mask:0xf
	v_mov_b32_dpp v62, v60 row_bcast:15 row_mask:0xf bank_mask:0xf
	v_cmp_ne_u32_e32 vcc, 0, v63
	s_and_saveexec_b64 s[4:5], vcc
; %bb.39:
	v_add_f64 v[59:60], v[59:60], v[61:62]
; %bb.40:
	s_or_b64 exec, exec, s[4:5]
	s_nop 0
	v_mov_b32_dpp v61, v59 row_bcast:31 row_mask:0xf bank_mask:0xf
	v_mov_b32_dpp v62, v60 row_bcast:31 row_mask:0xf bank_mask:0xf
	v_add_f64 v[61:62], v[59:60], v[61:62]
	v_or_b32_e32 v63, 63, v0
	v_cmp_lt_u32_e32 vcc, 31, v69
	s_ashr_i32 s7, s6, 31
	v_lshrrev_b32_e32 v66, 6, v0
	v_cndmask_b32_e32 v60, v60, v62, vcc
	v_cndmask_b32_e32 v59, v59, v61, vcc
	v_cmp_eq_u32_e32 vcc, v0, v63
	s_and_saveexec_b64 s[4:5], vcc
; %bb.41:
	v_lshlrev_b32_e32 v61, 3, v66
	ds_write_b64 v61, v[59:60]
; %bb.42:
	s_or_b64 exec, exec, s[4:5]
	v_cmp_gt_u32_e32 vcc, 4, v0
	s_waitcnt lgkmcnt(0)
	s_barrier
	s_and_saveexec_b64 s[4:5], vcc
	s_cbranch_execz .LBB6_46
; %bb.43:
	ds_read_b64 v[61:62], v65
	v_and_b32_e32 v67, 3, v69
	v_cmp_ne_u32_e32 vcc, 0, v67
	s_waitcnt lgkmcnt(0)
	v_mov_b32_dpp v63, v61 row_shr:1 row_mask:0xf bank_mask:0xf
	v_mov_b32_dpp v64, v62 row_shr:1 row_mask:0xf bank_mask:0xf
	s_and_saveexec_b64 s[34:35], vcc
; %bb.44:
	v_add_f64 v[61:62], v[61:62], v[63:64]
; %bb.45:
	s_or_b64 exec, exec, s[34:35]
	s_nop 0
	v_mov_b32_dpp v63, v61 row_shr:2 row_mask:0xf bank_mask:0xf
	v_mov_b32_dpp v64, v62 row_shr:2 row_mask:0xf bank_mask:0xf
	v_add_f64 v[63:64], v[61:62], v[63:64]
	v_cmp_lt_u32_e32 vcc, 1, v67
	v_cndmask_b32_e32 v62, v62, v64, vcc
	v_cndmask_b32_e32 v61, v61, v63, vcc
	ds_write_b64 v65, v[61:62]
.LBB6_46:
	s_or_b64 exec, exec, s[4:5]
	v_mov_b32_e32 v61, 0
	v_mul_u32_u24_e32 v63, 0x70, v0
	v_mov_b32_e32 v62, 0
	v_cmp_lt_u32_e32 vcc, 63, v0
	s_waitcnt lgkmcnt(0)
	s_barrier
	s_and_saveexec_b64 s[4:5], vcc
	s_cbranch_execz .LBB6_48
; %bb.47:
	v_lshl_add_u32 v61, v66, 3, -8
	ds_read_b64 v[61:62], v61
	s_waitcnt lgkmcnt(0)
	v_add_f64 v[61:62], v[61:62], 0
.LBB6_48:
	s_or_b64 exec, exec, s[4:5]
	v_add_f64 v[59:60], v[59:60], v[61:62]
	v_subrev_co_u32_e32 v64, vcc, 1, v69
	v_and_b32_e32 v66, 64, v69
	v_cmp_lt_i32_e64 s[4:5], v64, v66
	v_cndmask_b32_e64 v64, v64, v69, s[4:5]
	v_lshlrev_b32_e32 v64, 2, v64
	v_add_u32_e32 v68, v65, v63
	ds_bpermute_b32 v59, v64, v59
	ds_bpermute_b32 v60, v64, v60
	s_waitcnt lgkmcnt(0)
	s_barrier
	v_cndmask_b32_e32 v59, v59, v61, vcc
	v_cndmask_b32_e32 v60, v60, v62, vcc
	v_cmp_ne_u32_e32 vcc, 0, v0
	v_cndmask_b32_e32 v60, 0, v60, vcc
	v_cndmask_b32_e32 v59, 0, v59, vcc
	v_add_f64 v[9:10], v[9:10], v[59:60]
	s_add_i32 s33, s33, -1
	s_movk_i32 s4, 0xff
	s_cmp_lg_u32 s6, s33
	v_cmp_eq_u32_e64 s[34:35], s4, v0
	s_cselect_b64 s[50:51], -1, 0
	s_and_b64 s[40:41], s[34:35], s[50:51]
	s_cmp_lg_u32 s6, 0
	v_add_f64 v[11:12], v[11:12], v[9:10]
	ds_write2_b64 v68, v[59:60], v[9:10] offset1:1
	v_mov_b32_e32 v59, v9
	v_mov_b32_e32 v60, v10
	v_add_f64 v[13:14], v[13:14], v[11:12]
	v_mov_b32_e32 v61, v11
	v_mov_b32_e32 v62, v12
	v_add_f64 v[15:16], v[15:16], v[13:14]
	ds_write2_b64 v68, v[11:12], v[13:14] offset0:2 offset1:3
	v_mov_b32_e32 v63, v13
	v_mov_b32_e32 v64, v14
	v_add_f64 v[25:26], v[25:26], v[15:16]
	v_mov_b32_e32 v66, v15
	v_mov_b32_e32 v67, v16
	v_add_f64 v[27:28], v[27:28], v[25:26]
	ds_write2_b64 v68, v[15:16], v[25:26] offset0:4 offset1:5
	;; [unrolled: 7-line block ×6, first 2 shown]
	v_mov_b32_e32 v88, v1
	v_mov_b32_e32 v89, v2
	v_add_f64 v[90:91], v[57:58], v[82:83]
	ds_write_b64 v68, v[82:83] offset:112
	s_waitcnt lgkmcnt(0)
	s_barrier
	ds_read2st64_b64 v[25:28], v65 offset1:4
	ds_read2st64_b64 v[21:24], v65 offset0:8 offset1:12
	ds_read2st64_b64 v[17:20], v65 offset0:16 offset1:20
	;; [unrolled: 1-line block ×6, first 2 shown]
	ds_read_b64 v[57:58], v65 offset:28672
	s_waitcnt lgkmcnt(0)
	s_barrier
	ds_write2_b64 v68, v[59:60], v[61:62] offset1:1
	ds_write2_b64 v68, v[63:64], v[66:67] offset0:2 offset1:3
	ds_write2_b64 v68, v[70:71], v[72:73] offset0:4 offset1:5
	;; [unrolled: 1-line block ×6, first 2 shown]
	ds_write_b64 v68, v[90:91] offset:112
	s_waitcnt lgkmcnt(0)
	s_barrier
	ds_read_b64 v[59:60], v65 offset:28672
	s_waitcnt lgkmcnt(0)
	s_barrier
	s_cbranch_scc0 .LBB6_59
; %bb.49:
	s_and_saveexec_b64 s[4:5], s[40:41]
	s_cbranch_execz .LBB6_51
; %bb.50:
	s_lshl_b64 s[38:39], s[6:7], 3
	s_add_u32 s38, s44, s38
	s_addc_u32 s39, s45, s39
	s_lshl_b64 s[52:53], s[6:7], 2
	s_add_u32 s52, s48, s52
	v_mov_b32_e32 v61, 0
	s_addc_u32 s53, s49, s53
	v_mov_b32_e32 v62, 1
	global_store_dwordx2 v61, v[59:60], s[38:39]
	s_waitcnt vmcnt(0)
	buffer_wbinvl1_vol
	global_atomic_swap v61, v62, s[52:53]
.LBB6_51:
	s_or_b64 exec, exec, s[4:5]
	s_movk_i32 s4, 0xbf
	v_cmp_lt_u32_e32 vcc, s4, v0
	s_and_saveexec_b64 s[52:53], vcc
	s_cbranch_execz .LBB6_74
; %bb.52:
	s_sub_i32 s33, s6, 64
	v_mov_b32_e32 v61, 0
	v_and_b32_e32 v0, 63, v0
	s_cmp_lt_i32 s33, 0
	v_mov_b32_e32 v64, 0
	v_mov_b32_e32 v62, 0
	s_cbranch_scc1 .LBB6_61
; %bb.53:
	v_mov_b32_e32 v65, 11
	v_mov_b32_e32 v70, s49
	;; [unrolled: 1-line block ×3, first 2 shown]
	s_branch .LBB6_55
.LBB6_54:                               ;   in Loop: Header=BB6_55 Depth=1
	s_cmp_lt_i32 s33, 0
	s_cselect_b64 s[54:55], -1, 0
	s_or_b64 s[54:55], s[38:39], s[54:55]
	s_andn2_b64 vcc, exec, s[54:55]
	s_cbranch_vccz .LBB6_60
.LBB6_55:                               ; =>This Loop Header: Depth=1
                                        ;     Child Loop BB6_56 Depth 2
	v_add_u32_e32 v63, s33, v0
	v_lshlrev_b64 v[67:68], 2, v[63:64]
	v_add_co_u32_e32 v67, vcc, s48, v67
	v_addc_co_u32_e32 v68, vcc, v70, v68, vcc
.LBB6_56:                               ;   Parent Loop BB6_55 Depth=1
                                        ; =>  This Inner Loop Header: Depth=2
	global_atomic_cmpswap v71, v[67:68], v[65:66], off glc
	s_waitcnt vmcnt(0)
	v_cmp_ne_u32_e32 vcc, 0, v71
	s_cmp_lg_u64 vcc, -1
	s_cbranch_scc1 .LBB6_56
; %bb.57:                               ;   in Loop: Header=BB6_55 Depth=1
	v_cmp_eq_u32_e64 s[4:5], 2, v71
	s_cmp_lg_u64 s[4:5], 0
	s_cselect_b64 s[38:39], -1, 0
	s_mov_b64 vcc, s[4:5]
	s_cbranch_vccnz .LBB6_54
; %bb.58:                               ;   in Loop: Header=BB6_55 Depth=1
	v_lshlrev_b64 v[67:68], 3, v[63:64]
	v_mov_b32_e32 v63, s45
	v_add_co_u32_e32 v67, vcc, s44, v67
	v_addc_co_u32_e32 v68, vcc, v63, v68, vcc
	buffer_wbinvl1_vol
	global_load_dwordx2 v[67:68], v[67:68], off
	s_sub_i32 s33, s33, 64
	v_mov_b32_e32 v71, 0
	s_waitcnt vmcnt(0)
	v_add_f64 v[61:62], v[61:62], v[67:68]
	s_branch .LBB6_54
.LBB6_59:
                                        ; implicit-def: $vgpr61_vgpr62
                                        ; implicit-def: $vgpr63_vgpr64
                                        ; implicit-def: $vgpr65_vgpr66
                                        ; implicit-def: $vgpr67_vgpr68
                                        ; implicit-def: $vgpr69_vgpr70
                                        ; implicit-def: $vgpr71_vgpr72
                                        ; implicit-def: $vgpr73_vgpr74
                                        ; implicit-def: $vgpr75_vgpr76
                                        ; implicit-def: $vgpr77_vgpr78
                                        ; implicit-def: $vgpr79_vgpr80
                                        ; implicit-def: $vgpr81_vgpr82
                                        ; implicit-def: $vgpr83_vgpr84
                                        ; implicit-def: $vgpr85_vgpr86
                                        ; implicit-def: $vgpr87_vgpr88
                                        ; implicit-def: $vgpr89_vgpr90
	s_cbranch_execnz .LBB6_75
	s_branch .LBB6_78
.LBB6_60:
	v_mov_b32_e32 v64, v71
	v_add_u32_e32 v65, s33, v0
	s_and_b64 vcc, exec, s[38:39]
	s_cbranch_vccz .LBB6_62
	s_branch .LBB6_66
.LBB6_61:
	s_mov_b64 s[4:5], 0
	v_add_u32_e32 v65, s33, v0
.LBB6_62:
	v_mov_b32_e32 v66, 0
	v_lshlrev_b64 v[66:67], 2, v[65:66]
	v_mov_b32_e32 v63, s49
	v_add_co_u32_e32 v66, vcc, s48, v66
	v_cmp_lt_i32_e64 s[38:39], -1, v65
	v_addc_co_u32_e32 v67, vcc, v63, v67, vcc
	v_mov_b32_e32 v63, 11
	s_branch .LBB6_64
.LBB6_63:                               ;   in Loop: Header=BB6_64 Depth=1
	s_or_b64 exec, exec, s[4:5]
	s_waitcnt vmcnt(0)
	v_cmp_ne_u32_e32 vcc, 0, v64
	s_not_b64 s[54:55], vcc
	v_mov_b32_e32 v71, s55
	v_cmp_eq_u32_e64 s[4:5], 2, v64
	v_mov_b32_e32 v70, s54
	v_cmp_le_u64_e32 vcc, s[4:5], v[70:71]
	s_cbranch_vccz .LBB6_66
.LBB6_64:                               ; =>This Inner Loop Header: Depth=1
	s_and_saveexec_b64 s[4:5], s[38:39]
	s_cbranch_execz .LBB6_63
; %bb.65:                               ;   in Loop: Header=BB6_64 Depth=1
	v_mov_b32_e32 v64, v63
	global_atomic_cmpswap v64, v[66:67], v[63:64], off glc
	s_branch .LBB6_63
.LBB6_66:
	v_lshrrev_b64 v[63:64], v0, s[4:5]
	s_waitcnt vmcnt(0)
	buffer_wbinvl1_vol
	v_cmp_eq_u64_e64 s[38:39], 0, v[63:64]
	v_cmp_ne_u64_e32 vcc, 0, v[63:64]
	v_mov_b32_e32 v64, s45
	v_mov_b32_e32 v63, s44
	s_and_saveexec_b64 s[54:55], vcc
	s_cbranch_execz .LBB6_68
; %bb.67:
	v_xor_b32_e32 v0, 63, v0
	v_lshrrev_b64 v[63:64], v0, -1
	v_cmp_le_u64_e32 vcc, s[4:5], v[63:64]
	v_mov_b32_e32 v64, s47
	s_andn2_b64 s[4:5], s[38:39], exec
	s_and_b64 s[38:39], vcc, exec
	v_mov_b32_e32 v63, s46
	s_or_b64 s[38:39], s[4:5], s[38:39]
.LBB6_68:
	s_or_b64 exec, exec, s[54:55]
	s_and_saveexec_b64 s[4:5], s[38:39]
	s_cbranch_execz .LBB6_70
; %bb.69:
	v_ashrrev_i32_e32 v66, 31, v65
	v_lshlrev_b64 v[65:66], 3, v[65:66]
	v_add_co_u32_e32 v63, vcc, v63, v65
	v_addc_co_u32_e32 v64, vcc, v64, v66, vcc
	global_load_dwordx2 v[63:64], v[63:64], off
	s_waitcnt vmcnt(0)
	v_add_f64 v[61:62], v[61:62], v[63:64]
.LBB6_70:
	s_or_b64 exec, exec, s[4:5]
	s_nop 0
	v_mov_b32_dpp v63, v61 quad_perm:[1,0,3,2] row_mask:0xf bank_mask:0xf
	v_mov_b32_dpp v64, v62 quad_perm:[1,0,3,2] row_mask:0xf bank_mask:0xf
	v_add_f64 v[61:62], v[61:62], v[63:64]
	v_lshlrev_b32_e32 v0, 2, v69
	s_nop 0
	v_mov_b32_dpp v63, v61 quad_perm:[2,3,0,1] row_mask:0xf bank_mask:0xf
	v_mov_b32_dpp v64, v62 quad_perm:[2,3,0,1] row_mask:0xf bank_mask:0xf
	v_add_f64 v[61:62], v[61:62], v[63:64]
	s_nop 1
	v_mov_b32_dpp v63, v61 row_ror:4 row_mask:0xf bank_mask:0xf
	v_mov_b32_dpp v64, v62 row_ror:4 row_mask:0xf bank_mask:0xf
	v_add_f64 v[61:62], v[61:62], v[63:64]
	s_nop 1
	v_mov_b32_dpp v63, v61 row_ror:8 row_mask:0xf bank_mask:0xf
	v_mov_b32_dpp v64, v62 row_ror:8 row_mask:0xf bank_mask:0xf
	v_add_f64 v[61:62], v[61:62], v[63:64]
	s_nop 1
	v_mov_b32_dpp v63, v61 row_bcast:15 row_mask:0xf bank_mask:0xf
	v_mov_b32_dpp v64, v62 row_bcast:15 row_mask:0xf bank_mask:0xf
	v_add_f64 v[61:62], v[61:62], v[63:64]
	s_nop 1
	v_mov_b32_dpp v63, v61 row_bcast:31 row_mask:0xf bank_mask:0xf
	v_mov_b32_dpp v64, v62 row_bcast:31 row_mask:0xf bank_mask:0xf
	v_add_f64 v[61:62], v[61:62], v[63:64]
	v_or_b32_e32 v63, 0xfc, v0
	v_and_b32_e32 v0, 0x100, v0
	ds_bpermute_b32 v61, v63, v61
	ds_bpermute_b32 v62, v63, v62
	s_waitcnt lgkmcnt(1)
	ds_bpermute_b32 v61, v0, v61
	s_waitcnt lgkmcnt(1)
	ds_bpermute_b32 v62, v0, v62
	s_and_b64 exec, exec, s[34:35]
	s_cbranch_execz .LBB6_74
; %bb.71:
	s_andn2_b64 vcc, exec, s[50:51]
	s_cbranch_vccnz .LBB6_73
; %bb.72:
	s_waitcnt lgkmcnt(0)
	v_add_f64 v[63:64], v[59:60], v[61:62]
	s_lshl_b64 s[4:5], s[6:7], 2
	s_add_u32 s4, s48, s4
	s_addc_u32 s5, s49, s5
	s_lshl_b64 s[6:7], s[6:7], 3
	s_add_u32 s6, s46, s6
	v_mov_b32_e32 v0, 0
	s_addc_u32 s7, s47, s7
	global_store_dwordx2 v0, v[63:64], s[6:7]
	v_mov_b32_e32 v63, 2
	s_waitcnt vmcnt(0)
	buffer_wbinvl1_vol
	global_atomic_swap v0, v63, s[4:5]
.LBB6_73:
	s_mov_b64 s[4:5], src_shared_base
	v_mov_b32_e32 v63, 0
	v_mov_b32_e32 v64, s5
	s_waitcnt lgkmcnt(0)
	flat_store_dwordx2 v[63:64], v[61:62]
	s_waitcnt vmcnt(0)
.LBB6_74:
	s_or_b64 exec, exec, s[52:53]
	s_mov_b64 s[4:5], src_shared_base
	s_waitcnt lgkmcnt(0)
	v_mov_b32_e32 v61, 0
	v_mov_b32_e32 v62, s5
	s_waitcnt vmcnt(0)
	s_barrier
	flat_load_dwordx2 v[61:62], v[61:62] glc
	s_waitcnt vmcnt(0)
	s_waitcnt lgkmcnt(0)
	v_add_f64 v[89:90], v[25:26], v[61:62]
	v_add_f64 v[87:88], v[27:28], v[61:62]
	v_add_f64 v[85:86], v[21:22], v[61:62]
	v_add_f64 v[83:84], v[23:24], v[61:62]
	v_add_f64 v[81:82], v[17:18], v[61:62]
	v_add_f64 v[79:80], v[19:20], v[61:62]
	v_add_f64 v[77:78], v[13:14], v[61:62]
	v_add_f64 v[75:76], v[15:16], v[61:62]
	v_add_f64 v[73:74], v[9:10], v[61:62]
	v_add_f64 v[71:72], v[11:12], v[61:62]
	v_add_f64 v[69:70], v[5:6], v[61:62]
	v_add_f64 v[67:68], v[7:8], v[61:62]
	v_add_f64 v[65:66], v[1:2], v[61:62]
	v_add_f64 v[63:64], v[3:4], v[61:62]
	v_add_f64 v[61:62], v[57:58], v[61:62]
	s_branch .LBB6_78
.LBB6_75:
	s_and_saveexec_b64 s[4:5], s[40:41]
	s_cbranch_execz .LBB6_77
; %bb.76:
	v_mov_b32_e32 v0, 0
	global_store_dwordx2 v0, v[59:60], s[44:45]
	global_store_dwordx2 v0, v[59:60], s[46:47]
	v_mov_b32_e32 v59, 2
	s_waitcnt vmcnt(0)
	buffer_wbinvl1_vol
	global_atomic_swap v0, v59, s[48:49]
.LBB6_77:
	s_or_b64 exec, exec, s[4:5]
	v_mov_b32_e32 v90, v26
	v_mov_b32_e32 v88, v28
	;; [unrolled: 1-line block ×30, first 2 shown]
.LBB6_78:
	s_and_saveexec_b64 s[4:5], s[0:1]
	s_cbranch_execnz .LBB6_94
; %bb.79:
	s_or_b64 exec, exec, s[4:5]
	s_and_saveexec_b64 s[0:1], s[2:3]
	s_cbranch_execnz .LBB6_95
.LBB6_80:
	s_or_b64 exec, exec, s[0:1]
	s_and_saveexec_b64 s[0:1], s[36:37]
	s_cbranch_execnz .LBB6_96
.LBB6_81:
	s_or_b64 exec, exec, s[0:1]
	s_and_saveexec_b64 s[0:1], s[30:31]
	s_cbranch_execnz .LBB6_97
.LBB6_82:
	s_or_b64 exec, exec, s[0:1]
	s_and_saveexec_b64 s[0:1], s[8:9]
	s_cbranch_execnz .LBB6_98
.LBB6_83:
	s_or_b64 exec, exec, s[0:1]
	s_and_saveexec_b64 s[0:1], s[10:11]
	s_cbranch_execnz .LBB6_99
.LBB6_84:
	s_or_b64 exec, exec, s[0:1]
	s_and_saveexec_b64 s[0:1], s[12:13]
	s_cbranch_execnz .LBB6_100
.LBB6_85:
	s_or_b64 exec, exec, s[0:1]
	s_and_saveexec_b64 s[0:1], s[14:15]
	s_cbranch_execnz .LBB6_101
.LBB6_86:
	s_or_b64 exec, exec, s[0:1]
	s_and_saveexec_b64 s[0:1], s[16:17]
	s_cbranch_execnz .LBB6_102
.LBB6_87:
	s_or_b64 exec, exec, s[0:1]
	s_and_saveexec_b64 s[0:1], s[18:19]
	s_cbranch_execnz .LBB6_103
.LBB6_88:
	s_or_b64 exec, exec, s[0:1]
	s_and_saveexec_b64 s[0:1], s[20:21]
	s_cbranch_execnz .LBB6_104
.LBB6_89:
	s_or_b64 exec, exec, s[0:1]
	s_and_saveexec_b64 s[0:1], s[22:23]
	s_cbranch_execnz .LBB6_105
.LBB6_90:
	s_or_b64 exec, exec, s[0:1]
	s_and_saveexec_b64 s[0:1], s[24:25]
	s_cbranch_execnz .LBB6_106
.LBB6_91:
	s_or_b64 exec, exec, s[0:1]
	s_and_saveexec_b64 s[0:1], s[26:27]
	s_cbranch_execnz .LBB6_107
.LBB6_92:
	s_or_b64 exec, exec, s[0:1]
	s_and_saveexec_b64 s[0:1], s[28:29]
	s_cbranch_execnz .LBB6_108
.LBB6_93:
	s_endpgm
.LBB6_94:
	v_lshlrev_b64 v[0:1], 3, v[29:30]
	v_mov_b32_e32 v2, s43
	v_add_co_u32_e32 v0, vcc, s42, v0
	v_addc_co_u32_e32 v1, vcc, v2, v1, vcc
	global_store_dwordx2 v[0:1], v[89:90], off
	s_or_b64 exec, exec, s[4:5]
	s_and_saveexec_b64 s[0:1], s[2:3]
	s_cbranch_execz .LBB6_80
.LBB6_95:
	v_lshlrev_b64 v[0:1], 3, v[29:30]
	v_mov_b32_e32 v2, s43
	v_add_co_u32_e32 v0, vcc, s42, v0
	v_addc_co_u32_e32 v1, vcc, v2, v1, vcc
	global_store_dwordx2 v[0:1], v[87:88], off offset:2048
	s_or_b64 exec, exec, s[0:1]
	s_and_saveexec_b64 s[0:1], s[36:37]
	s_cbranch_execz .LBB6_81
.LBB6_96:
	v_lshlrev_b64 v[0:1], 3, v[31:32]
	v_mov_b32_e32 v2, s43
	v_add_co_u32_e32 v0, vcc, s42, v0
	v_addc_co_u32_e32 v1, vcc, v2, v1, vcc
	global_store_dwordx2 v[0:1], v[85:86], off
	s_or_b64 exec, exec, s[0:1]
	s_and_saveexec_b64 s[0:1], s[30:31]
	s_cbranch_execz .LBB6_82
.LBB6_97:
	v_lshlrev_b64 v[0:1], 3, v[33:34]
	v_mov_b32_e32 v2, s43
	v_add_co_u32_e32 v0, vcc, s42, v0
	v_addc_co_u32_e32 v1, vcc, v2, v1, vcc
	global_store_dwordx2 v[0:1], v[83:84], off
	s_or_b64 exec, exec, s[0:1]
	s_and_saveexec_b64 s[0:1], s[8:9]
	s_cbranch_execz .LBB6_83
.LBB6_98:
	v_lshlrev_b64 v[0:1], 3, v[35:36]
	v_mov_b32_e32 v2, s43
	v_add_co_u32_e32 v0, vcc, s42, v0
	v_addc_co_u32_e32 v1, vcc, v2, v1, vcc
	global_store_dwordx2 v[0:1], v[81:82], off
	s_or_b64 exec, exec, s[0:1]
	s_and_saveexec_b64 s[0:1], s[10:11]
	s_cbranch_execz .LBB6_84
.LBB6_99:
	v_lshlrev_b64 v[0:1], 3, v[37:38]
	v_mov_b32_e32 v2, s43
	v_add_co_u32_e32 v0, vcc, s42, v0
	v_addc_co_u32_e32 v1, vcc, v2, v1, vcc
	global_store_dwordx2 v[0:1], v[79:80], off
	s_or_b64 exec, exec, s[0:1]
	s_and_saveexec_b64 s[0:1], s[12:13]
	s_cbranch_execz .LBB6_85
.LBB6_100:
	v_lshlrev_b64 v[0:1], 3, v[39:40]
	v_mov_b32_e32 v2, s43
	v_add_co_u32_e32 v0, vcc, s42, v0
	v_addc_co_u32_e32 v1, vcc, v2, v1, vcc
	global_store_dwordx2 v[0:1], v[77:78], off
	s_or_b64 exec, exec, s[0:1]
	s_and_saveexec_b64 s[0:1], s[14:15]
	s_cbranch_execz .LBB6_86
.LBB6_101:
	v_lshlrev_b64 v[0:1], 3, v[41:42]
	v_mov_b32_e32 v2, s43
	v_add_co_u32_e32 v0, vcc, s42, v0
	v_addc_co_u32_e32 v1, vcc, v2, v1, vcc
	global_store_dwordx2 v[0:1], v[75:76], off
	s_or_b64 exec, exec, s[0:1]
	s_and_saveexec_b64 s[0:1], s[16:17]
	s_cbranch_execz .LBB6_87
.LBB6_102:
	v_lshlrev_b64 v[0:1], 3, v[43:44]
	v_mov_b32_e32 v2, s43
	v_add_co_u32_e32 v0, vcc, s42, v0
	v_addc_co_u32_e32 v1, vcc, v2, v1, vcc
	global_store_dwordx2 v[0:1], v[73:74], off
	s_or_b64 exec, exec, s[0:1]
	s_and_saveexec_b64 s[0:1], s[18:19]
	s_cbranch_execz .LBB6_88
.LBB6_103:
	v_lshlrev_b64 v[0:1], 3, v[45:46]
	v_mov_b32_e32 v2, s43
	v_add_co_u32_e32 v0, vcc, s42, v0
	v_addc_co_u32_e32 v1, vcc, v2, v1, vcc
	global_store_dwordx2 v[0:1], v[71:72], off
	s_or_b64 exec, exec, s[0:1]
	s_and_saveexec_b64 s[0:1], s[20:21]
	s_cbranch_execz .LBB6_89
.LBB6_104:
	v_lshlrev_b64 v[0:1], 3, v[47:48]
	v_mov_b32_e32 v2, s43
	v_add_co_u32_e32 v0, vcc, s42, v0
	v_addc_co_u32_e32 v1, vcc, v2, v1, vcc
	global_store_dwordx2 v[0:1], v[69:70], off
	s_or_b64 exec, exec, s[0:1]
	s_and_saveexec_b64 s[0:1], s[22:23]
	s_cbranch_execz .LBB6_90
.LBB6_105:
	v_lshlrev_b64 v[0:1], 3, v[49:50]
	v_mov_b32_e32 v2, s43
	v_add_co_u32_e32 v0, vcc, s42, v0
	v_addc_co_u32_e32 v1, vcc, v2, v1, vcc
	global_store_dwordx2 v[0:1], v[67:68], off
	s_or_b64 exec, exec, s[0:1]
	s_and_saveexec_b64 s[0:1], s[24:25]
	s_cbranch_execz .LBB6_91
.LBB6_106:
	v_lshlrev_b64 v[0:1], 3, v[51:52]
	v_mov_b32_e32 v2, s43
	v_add_co_u32_e32 v0, vcc, s42, v0
	v_addc_co_u32_e32 v1, vcc, v2, v1, vcc
	global_store_dwordx2 v[0:1], v[65:66], off
	s_or_b64 exec, exec, s[0:1]
	s_and_saveexec_b64 s[0:1], s[26:27]
	s_cbranch_execz .LBB6_92
.LBB6_107:
	v_lshlrev_b64 v[0:1], 3, v[53:54]
	v_mov_b32_e32 v2, s43
	v_add_co_u32_e32 v0, vcc, s42, v0
	v_addc_co_u32_e32 v1, vcc, v2, v1, vcc
	global_store_dwordx2 v[0:1], v[63:64], off
	s_or_b64 exec, exec, s[0:1]
	s_and_saveexec_b64 s[0:1], s[28:29]
	s_cbranch_execz .LBB6_93
.LBB6_108:
	v_lshlrev_b64 v[0:1], 3, v[55:56]
	v_mov_b32_e32 v2, s43
	v_add_co_u32_e32 v0, vcc, s42, v0
	v_addc_co_u32_e32 v1, vcc, v2, v1, vcc
	global_store_dwordx2 v[0:1], v[61:62], off
	s_endpgm
	.section	.rodata,"a",@progbits
	.p2align	6, 0x0
	.amdhsa_kernel _ZN8rajaperf9algorithm11scan_customILm256ELm15EEEvPdS2_S2_S2_Pjl
		.amdhsa_group_segment_fixed_size 30720
		.amdhsa_private_segment_fixed_size 0
		.amdhsa_kernarg_size 304
		.amdhsa_user_sgpr_count 6
		.amdhsa_user_sgpr_private_segment_buffer 1
		.amdhsa_user_sgpr_dispatch_ptr 0
		.amdhsa_user_sgpr_queue_ptr 0
		.amdhsa_user_sgpr_kernarg_segment_ptr 1
		.amdhsa_user_sgpr_dispatch_id 0
		.amdhsa_user_sgpr_flat_scratch_init 0
		.amdhsa_user_sgpr_private_segment_size 0
		.amdhsa_uses_dynamic_stack 0
		.amdhsa_system_sgpr_private_segment_wavefront_offset 0
		.amdhsa_system_sgpr_workgroup_id_x 1
		.amdhsa_system_sgpr_workgroup_id_y 0
		.amdhsa_system_sgpr_workgroup_id_z 0
		.amdhsa_system_sgpr_workgroup_info 0
		.amdhsa_system_vgpr_workitem_id 0
		.amdhsa_next_free_vgpr 92
		.amdhsa_next_free_sgpr 98
		.amdhsa_reserve_vcc 1
		.amdhsa_reserve_flat_scratch 0
		.amdhsa_float_round_mode_32 0
		.amdhsa_float_round_mode_16_64 0
		.amdhsa_float_denorm_mode_32 3
		.amdhsa_float_denorm_mode_16_64 3
		.amdhsa_dx10_clamp 1
		.amdhsa_ieee_mode 1
		.amdhsa_fp16_overflow 0
		.amdhsa_exception_fp_ieee_invalid_op 0
		.amdhsa_exception_fp_denorm_src 0
		.amdhsa_exception_fp_ieee_div_zero 0
		.amdhsa_exception_fp_ieee_overflow 0
		.amdhsa_exception_fp_ieee_underflow 0
		.amdhsa_exception_fp_ieee_inexact 0
		.amdhsa_exception_int_div_zero 0
	.end_amdhsa_kernel
	.section	.text._ZN8rajaperf9algorithm11scan_customILm256ELm15EEEvPdS2_S2_S2_Pjl,"axG",@progbits,_ZN8rajaperf9algorithm11scan_customILm256ELm15EEEvPdS2_S2_S2_Pjl,comdat
.Lfunc_end6:
	.size	_ZN8rajaperf9algorithm11scan_customILm256ELm15EEEvPdS2_S2_S2_Pjl, .Lfunc_end6-_ZN8rajaperf9algorithm11scan_customILm256ELm15EEEvPdS2_S2_S2_Pjl
                                        ; -- End function
	.set _ZN8rajaperf9algorithm11scan_customILm256ELm15EEEvPdS2_S2_S2_Pjl.num_vgpr, 92
	.set _ZN8rajaperf9algorithm11scan_customILm256ELm15EEEvPdS2_S2_S2_Pjl.num_agpr, 0
	.set _ZN8rajaperf9algorithm11scan_customILm256ELm15EEEvPdS2_S2_S2_Pjl.numbered_sgpr, 56
	.set _ZN8rajaperf9algorithm11scan_customILm256ELm15EEEvPdS2_S2_S2_Pjl.num_named_barrier, 0
	.set _ZN8rajaperf9algorithm11scan_customILm256ELm15EEEvPdS2_S2_S2_Pjl.private_seg_size, 0
	.set _ZN8rajaperf9algorithm11scan_customILm256ELm15EEEvPdS2_S2_S2_Pjl.uses_vcc, 1
	.set _ZN8rajaperf9algorithm11scan_customILm256ELm15EEEvPdS2_S2_S2_Pjl.uses_flat_scratch, 0
	.set _ZN8rajaperf9algorithm11scan_customILm256ELm15EEEvPdS2_S2_S2_Pjl.has_dyn_sized_stack, 0
	.set _ZN8rajaperf9algorithm11scan_customILm256ELm15EEEvPdS2_S2_S2_Pjl.has_recursion, 0
	.set _ZN8rajaperf9algorithm11scan_customILm256ELm15EEEvPdS2_S2_S2_Pjl.has_indirect_call, 0
	.section	.AMDGPU.csdata,"",@progbits
; Kernel info:
; codeLenInByte = 4448
; TotalNumSgprs: 60
; NumVgprs: 92
; ScratchSize: 0
; MemoryBound: 0
; FloatMode: 240
; IeeeMode: 1
; LDSByteSize: 30720 bytes/workgroup (compile time only)
; SGPRBlocks: 12
; VGPRBlocks: 22
; NumSGPRsForWavesPerEU: 102
; NumVGPRsForWavesPerEU: 92
; Occupancy: 2
; WaveLimiterHint : 0
; COMPUTE_PGM_RSRC2:SCRATCH_EN: 0
; COMPUTE_PGM_RSRC2:USER_SGPR: 6
; COMPUTE_PGM_RSRC2:TRAP_HANDLER: 0
; COMPUTE_PGM_RSRC2:TGID_X_EN: 1
; COMPUTE_PGM_RSRC2:TGID_Y_EN: 0
; COMPUTE_PGM_RSRC2:TGID_Z_EN: 0
; COMPUTE_PGM_RSRC2:TIDIG_COMP_CNT: 0
	.section	.AMDGPU.gpr_maximums,"",@progbits
	.set amdgpu.max_num_vgpr, 0
	.set amdgpu.max_num_agpr, 0
	.set amdgpu.max_num_sgpr, 0
	.section	.AMDGPU.csdata,"",@progbits
	.type	__hip_cuid_d74a703eb7d30a6b,@object ; @__hip_cuid_d74a703eb7d30a6b
	.section	.bss,"aw",@nobits
	.globl	__hip_cuid_d74a703eb7d30a6b
__hip_cuid_d74a703eb7d30a6b:
	.byte	0                               ; 0x0
	.size	__hip_cuid_d74a703eb7d30a6b, 1

	.ident	"AMD clang version 22.0.0git (https://github.com/RadeonOpenCompute/llvm-project roc-7.2.4 26084 f58b06dce1f9c15707c5f808fd002e18c2accf7e)"
	.section	".note.GNU-stack","",@progbits
	.addrsig
	.addrsig_sym __hip_cuid_d74a703eb7d30a6b
	.amdgpu_metadata
---
amdhsa.kernels:
  - .args:
      - .address_space:  global
        .offset:         0
        .size:           8
        .value_kind:     global_buffer
      - .offset:         8
        .size:           4
        .value_kind:     by_value
      - .offset:         12
        .size:           4
        .value_kind:     by_value
      - .address_space:  global
        .offset:         16
        .size:           8
        .value_kind:     global_buffer
      - .offset:         24
        .size:           4
        .value_kind:     hidden_block_count_x
      - .offset:         28
        .size:           4
        .value_kind:     hidden_block_count_y
      - .offset:         32
        .size:           4
        .value_kind:     hidden_block_count_z
      - .offset:         36
        .size:           2
        .value_kind:     hidden_group_size_x
      - .offset:         38
        .size:           2
        .value_kind:     hidden_group_size_y
      - .offset:         40
        .size:           2
        .value_kind:     hidden_group_size_z
      - .offset:         42
        .size:           2
        .value_kind:     hidden_remainder_x
      - .offset:         44
        .size:           2
        .value_kind:     hidden_remainder_y
      - .offset:         46
        .size:           2
        .value_kind:     hidden_remainder_z
      - .offset:         64
        .size:           8
        .value_kind:     hidden_global_offset_x
      - .offset:         72
        .size:           8
        .value_kind:     hidden_global_offset_y
      - .offset:         80
        .size:           8
        .value_kind:     hidden_global_offset_z
      - .offset:         88
        .size:           2
        .value_kind:     hidden_grid_dims
    .group_segment_fixed_size: 0
    .kernarg_segment_align: 8
    .kernarg_segment_size: 280
    .language:       OpenCL C
    .language_version:
      - 2
      - 0
    .max_flat_workgroup_size: 256
    .name:           _ZN7rocprim6detail31init_lookback_scan_state_kernelINS0_19lookback_scan_stateIdLb1ELb1EEEEEvT_jjPNS4_10value_typeE
    .private_segment_fixed_size: 0
    .sgpr_count:     18
    .sgpr_spill_count: 0
    .symbol:         _ZN7rocprim6detail31init_lookback_scan_state_kernelINS0_19lookback_scan_stateIdLb1ELb1EEEEEvT_jjPNS4_10value_typeE.kd
    .uniform_work_group_size: 1
    .uses_dynamic_stack: false
    .vgpr_count:     8
    .vgpr_spill_count: 0
    .wavefront_size: 64
  - .args:
      - .address_space:  global
        .offset:         0
        .size:           8
        .value_kind:     global_buffer
      - .offset:         8
        .size:           4
        .value_kind:     by_value
      - .offset:         12
        .size:           4
        .value_kind:     by_value
      - .address_space:  global
        .offset:         16
        .size:           8
        .value_kind:     global_buffer
      - .offset:         24
        .size:           4
        .value_kind:     hidden_block_count_x
      - .offset:         28
        .size:           4
        .value_kind:     hidden_block_count_y
      - .offset:         32
        .size:           4
        .value_kind:     hidden_block_count_z
      - .offset:         36
        .size:           2
        .value_kind:     hidden_group_size_x
      - .offset:         38
        .size:           2
        .value_kind:     hidden_group_size_y
      - .offset:         40
        .size:           2
        .value_kind:     hidden_group_size_z
      - .offset:         42
        .size:           2
        .value_kind:     hidden_remainder_x
      - .offset:         44
        .size:           2
        .value_kind:     hidden_remainder_y
      - .offset:         46
        .size:           2
        .value_kind:     hidden_remainder_z
      - .offset:         64
        .size:           8
        .value_kind:     hidden_global_offset_x
      - .offset:         72
        .size:           8
        .value_kind:     hidden_global_offset_y
      - .offset:         80
        .size:           8
        .value_kind:     hidden_global_offset_z
      - .offset:         88
        .size:           2
        .value_kind:     hidden_grid_dims
    .group_segment_fixed_size: 0
    .kernarg_segment_align: 8
    .kernarg_segment_size: 280
    .language:       OpenCL C
    .language_version:
      - 2
      - 0
    .max_flat_workgroup_size: 256
    .name:           _ZN7rocprim6detail31init_lookback_scan_state_kernelINS0_19lookback_scan_stateIdLb0ELb1EEEEEvT_jjPNS4_10value_typeE
    .private_segment_fixed_size: 0
    .sgpr_count:     18
    .sgpr_spill_count: 0
    .symbol:         _ZN7rocprim6detail31init_lookback_scan_state_kernelINS0_19lookback_scan_stateIdLb0ELb1EEEEEvT_jjPNS4_10value_typeE.kd
    .uniform_work_group_size: 1
    .uses_dynamic_stack: false
    .vgpr_count:     8
    .vgpr_spill_count: 0
    .wavefront_size: 64
  - .args:
      - .address_space:  global
        .offset:         0
        .size:           8
        .value_kind:     global_buffer
      - .address_space:  global
        .offset:         8
        .size:           8
        .value_kind:     global_buffer
      - .offset:         16
        .size:           8
        .value_kind:     by_value
      - .offset:         24
        .size:           8
        .value_kind:     by_value
      - .offset:         32
        .size:           1
        .value_kind:     by_value
      - .address_space:  global
        .offset:         40
        .size:           8
        .value_kind:     global_buffer
      - .offset:         48
        .size:           4
        .value_kind:     by_value
      - .address_space:  global
        .offset:         56
        .size:           8
        .value_kind:     global_buffer
      - .address_space:  global
        .offset:         64
        .size:           8
        .value_kind:     global_buffer
      - .offset:         72
        .size:           1
        .value_kind:     by_value
      - .offset:         73
        .size:           1
        .value_kind:     by_value
    .group_segment_fixed_size: 0
    .kernarg_segment_align: 8
    .kernarg_segment_size: 76
    .language:       OpenCL C
    .language_version:
      - 2
      - 0
    .max_flat_workgroup_size: 128
    .name:           _ZN7rocprim6detail20lookback_scan_kernelILNS0_25lookback_scan_determinismE0ELb1ENS0_19wrapped_scan_configINS_14default_configEdEEPdS6_N4RAJA9operators4plusIdddEEddNS0_19lookback_scan_stateIdLb1ELb1EEEEEvT2_T3_mT5_T4_T7_jPT6_SJ_bb
    .private_segment_fixed_size: 0
    .sgpr_count:     4
    .sgpr_spill_count: 0
    .symbol:         _ZN7rocprim6detail20lookback_scan_kernelILNS0_25lookback_scan_determinismE0ELb1ENS0_19wrapped_scan_configINS_14default_configEdEEPdS6_N4RAJA9operators4plusIdddEEddNS0_19lookback_scan_stateIdLb1ELb1EEEEEvT2_T3_mT5_T4_T7_jPT6_SJ_bb.kd
    .uniform_work_group_size: 1
    .uses_dynamic_stack: false
    .vgpr_count:     0
    .vgpr_spill_count: 0
    .wavefront_size: 64
  - .args:
      - .address_space:  global
        .offset:         0
        .size:           8
        .value_kind:     global_buffer
      - .address_space:  global
        .offset:         8
        .size:           8
        .value_kind:     global_buffer
      - .offset:         16
        .size:           8
        .value_kind:     by_value
      - .offset:         24
        .size:           8
        .value_kind:     by_value
      - .offset:         32
        .size:           1
        .value_kind:     by_value
      - .address_space:  global
        .offset:         40
        .size:           8
        .value_kind:     global_buffer
      - .offset:         48
        .size:           4
        .value_kind:     by_value
      - .address_space:  global
        .offset:         56
        .size:           8
        .value_kind:     global_buffer
      - .address_space:  global
        .offset:         64
        .size:           8
        .value_kind:     global_buffer
      - .offset:         72
        .size:           1
        .value_kind:     by_value
      - .offset:         73
        .size:           1
        .value_kind:     by_value
    .group_segment_fixed_size: 10240
    .kernarg_segment_align: 8
    .kernarg_segment_size: 76
    .language:       OpenCL C
    .language_version:
      - 2
      - 0
    .max_flat_workgroup_size: 128
    .name:           _ZN7rocprim6detail20lookback_scan_kernelILNS0_25lookback_scan_determinismE0ELb1ENS0_19wrapped_scan_configINS_14default_configEdEEPdS6_N4RAJA9operators4plusIdddEEddNS0_19lookback_scan_stateIdLb0ELb1EEEEEvT2_T3_mT5_T4_T7_jPT6_SJ_bb
    .private_segment_fixed_size: 0
    .sgpr_count:     34
    .sgpr_spill_count: 0
    .symbol:         _ZN7rocprim6detail20lookback_scan_kernelILNS0_25lookback_scan_determinismE0ELb1ENS0_19wrapped_scan_configINS_14default_configEdEEPdS6_N4RAJA9operators4plusIdddEEddNS0_19lookback_scan_stateIdLb0ELb1EEEEEvT2_T3_mT5_T4_T7_jPT6_SJ_bb.kd
    .uniform_work_group_size: 1
    .uses_dynamic_stack: false
    .vgpr_count:     56
    .vgpr_spill_count: 0
    .wavefront_size: 64
  - .args:
      - .address_space:  global
        .offset:         0
        .size:           8
        .value_kind:     global_buffer
      - .offset:         8
        .size:           8
        .value_kind:     by_value
      - .address_space:  global
        .offset:         16
        .size:           8
        .value_kind:     global_buffer
      - .offset:         24
        .size:           1
        .value_kind:     by_value
      - .offset:         32
        .size:           4
        .value_kind:     hidden_block_count_x
      - .offset:         36
        .size:           4
        .value_kind:     hidden_block_count_y
      - .offset:         40
        .size:           4
        .value_kind:     hidden_block_count_z
      - .offset:         44
        .size:           2
        .value_kind:     hidden_group_size_x
      - .offset:         46
        .size:           2
        .value_kind:     hidden_group_size_y
      - .offset:         48
        .size:           2
        .value_kind:     hidden_group_size_z
      - .offset:         50
        .size:           2
        .value_kind:     hidden_remainder_x
      - .offset:         52
        .size:           2
        .value_kind:     hidden_remainder_y
      - .offset:         54
        .size:           2
        .value_kind:     hidden_remainder_z
      - .offset:         72
        .size:           8
        .value_kind:     hidden_global_offset_x
      - .offset:         80
        .size:           8
        .value_kind:     hidden_global_offset_y
      - .offset:         88
        .size:           8
        .value_kind:     hidden_global_offset_z
      - .offset:         96
        .size:           2
        .value_kind:     hidden_grid_dims
    .group_segment_fixed_size: 0
    .kernarg_segment_align: 8
    .kernarg_segment_size: 288
    .language:       OpenCL C
    .language_version:
      - 2
      - 0
    .max_flat_workgroup_size: 1024
    .name:           _ZN7rocprim6detail16transform_kernelINS0_24wrapped_transform_configINS_14default_configEdEEdPdS5_NS_8identityIdEEEEvT1_mT2_T3_
    .private_segment_fixed_size: 0
    .sgpr_count:     14
    .sgpr_spill_count: 0
    .symbol:         _ZN7rocprim6detail16transform_kernelINS0_24wrapped_transform_configINS_14default_configEdEEdPdS5_NS_8identityIdEEEEvT1_mT2_T3_.kd
    .uniform_work_group_size: 1
    .uses_dynamic_stack: false
    .vgpr_count:     3
    .vgpr_spill_count: 0
    .wavefront_size: 64
  - .args:
      - .address_space:  global
        .offset:         0
        .size:           8
        .value_kind:     global_buffer
      - .offset:         8
        .size:           8
        .value_kind:     by_value
      - .offset:         16
        .size:           8
        .value_kind:     by_value
      - .address_space:  global
        .offset:         24
        .size:           8
        .value_kind:     global_buffer
      - .offset:         32
        .size:           1
        .value_kind:     by_value
    .group_segment_fixed_size: 10240
    .kernarg_segment_align: 8
    .kernarg_segment_size: 36
    .language:       OpenCL C
    .language_version:
      - 2
      - 0
    .max_flat_workgroup_size: 128
    .name:           _ZN7rocprim6detail18single_scan_kernelILb1ENS0_19wrapped_scan_configINS_14default_configEdEEPdS5_N4RAJA9operators4plusIdddEEddEEvT1_mT4_T2_T3_
    .private_segment_fixed_size: 0
    .sgpr_count:     32
    .sgpr_spill_count: 0
    .symbol:         _ZN7rocprim6detail18single_scan_kernelILb1ENS0_19wrapped_scan_configINS_14default_configEdEEPdS5_N4RAJA9operators4plusIdddEEddEEvT1_mT4_T2_T3_.kd
    .uniform_work_group_size: 1
    .uses_dynamic_stack: false
    .vgpr_count:     34
    .vgpr_spill_count: 0
    .wavefront_size: 64
  - .args:
      - .address_space:  global
        .offset:         0
        .size:           8
        .value_kind:     global_buffer
      - .address_space:  global
        .offset:         8
        .size:           8
        .value_kind:     global_buffer
      - .address_space:  global
        .offset:         16
        .size:           8
        .value_kind:     global_buffer
      - .address_space:  global
        .offset:         24
        .size:           8
        .value_kind:     global_buffer
      - .address_space:  global
        .offset:         32
        .size:           8
        .value_kind:     global_buffer
      - .offset:         40
        .size:           8
        .value_kind:     by_value
      - .offset:         48
        .size:           4
        .value_kind:     hidden_block_count_x
      - .offset:         52
        .size:           4
        .value_kind:     hidden_block_count_y
      - .offset:         56
        .size:           4
        .value_kind:     hidden_block_count_z
      - .offset:         60
        .size:           2
        .value_kind:     hidden_group_size_x
      - .offset:         62
        .size:           2
        .value_kind:     hidden_group_size_y
      - .offset:         64
        .size:           2
        .value_kind:     hidden_group_size_z
      - .offset:         66
        .size:           2
        .value_kind:     hidden_remainder_x
      - .offset:         68
        .size:           2
        .value_kind:     hidden_remainder_y
      - .offset:         70
        .size:           2
        .value_kind:     hidden_remainder_z
      - .offset:         88
        .size:           8
        .value_kind:     hidden_global_offset_x
      - .offset:         96
        .size:           8
        .value_kind:     hidden_global_offset_y
      - .offset:         104
        .size:           8
        .value_kind:     hidden_global_offset_z
      - .offset:         112
        .size:           2
        .value_kind:     hidden_grid_dims
    .group_segment_fixed_size: 30720
    .kernarg_segment_align: 8
    .kernarg_segment_size: 304
    .language:       OpenCL C
    .language_version:
      - 2
      - 0
    .max_flat_workgroup_size: 256
    .name:           _ZN8rajaperf9algorithm11scan_customILm256ELm15EEEvPdS2_S2_S2_Pjl
    .private_segment_fixed_size: 0
    .sgpr_count:     60
    .sgpr_spill_count: 0
    .symbol:         _ZN8rajaperf9algorithm11scan_customILm256ELm15EEEvPdS2_S2_S2_Pjl.kd
    .uniform_work_group_size: 1
    .uses_dynamic_stack: false
    .vgpr_count:     92
    .vgpr_spill_count: 0
    .wavefront_size: 64
amdhsa.target:   amdgcn-amd-amdhsa--gfx906
amdhsa.version:
  - 1
  - 2
...

	.end_amdgpu_metadata
